;; amdgpu-corpus repo=ROCm/rocFFT kind=compiled arch=gfx1201 opt=O3
	.text
	.amdgcn_target "amdgcn-amd-amdhsa--gfx1201"
	.amdhsa_code_object_version 6
	.protected	fft_rtc_back_len450_factors_10_5_3_3_wgs_120_tpt_30_halfLds_dp_ip_CI_sbrr_dirReg ; -- Begin function fft_rtc_back_len450_factors_10_5_3_3_wgs_120_tpt_30_halfLds_dp_ip_CI_sbrr_dirReg
	.globl	fft_rtc_back_len450_factors_10_5_3_3_wgs_120_tpt_30_halfLds_dp_ip_CI_sbrr_dirReg
	.p2align	8
	.type	fft_rtc_back_len450_factors_10_5_3_3_wgs_120_tpt_30_halfLds_dp_ip_CI_sbrr_dirReg,@function
fft_rtc_back_len450_factors_10_5_3_3_wgs_120_tpt_30_halfLds_dp_ip_CI_sbrr_dirReg: ; @fft_rtc_back_len450_factors_10_5_3_3_wgs_120_tpt_30_halfLds_dp_ip_CI_sbrr_dirReg
; %bb.0:
	s_clause 0x2
	s_load_b64 s[12:13], s[0:1], 0x18
	s_load_b128 s[4:7], s[0:1], 0x0
	s_load_b64 s[10:11], s[0:1], 0x50
	v_mul_u32_u24_e32 v1, 0x889, v0
	v_mov_b32_e32 v3, 0
	s_delay_alu instid0(VALU_DEP_2) | instskip(SKIP_2) | instid1(VALU_DEP_4)
	v_lshrrev_b32_e32 v104, 16, v1
	v_mov_b32_e32 v1, 0
	v_mov_b32_e32 v2, 0
	;; [unrolled: 1-line block ×3, first 2 shown]
	s_delay_alu instid0(VALU_DEP_4) | instskip(SKIP_3) | instid1(VALU_DEP_1)
	v_lshl_add_u32 v5, ttmp9, 2, v104
	s_wait_kmcnt 0x0
	s_load_b64 s[8:9], s[12:13], 0x0
	v_cmp_lt_u64_e64 s2, s[6:7], 2
	s_and_b32 vcc_lo, exec_lo, s2
	s_cbranch_vccnz .LBB0_8
; %bb.1:
	s_load_b64 s[2:3], s[0:1], 0x10
	v_mov_b32_e32 v1, 0
	v_mov_b32_e32 v2, 0
	s_add_nc_u64 s[14:15], s[12:13], 8
	s_mov_b64 s[16:17], 1
	s_wait_kmcnt 0x0
	s_add_nc_u64 s[18:19], s[2:3], 8
	s_mov_b32 s3, 0
.LBB0_2:                                ; =>This Inner Loop Header: Depth=1
	s_load_b64 s[20:21], s[18:19], 0x0
                                        ; implicit-def: $vgpr7_vgpr8
	s_mov_b32 s2, exec_lo
	s_wait_kmcnt 0x0
	v_or_b32_e32 v4, s21, v6
	s_delay_alu instid0(VALU_DEP_1)
	v_cmpx_ne_u64_e32 0, v[3:4]
	s_wait_alu 0xfffe
	s_xor_b32 s22, exec_lo, s2
	s_cbranch_execz .LBB0_4
; %bb.3:                                ;   in Loop: Header=BB0_2 Depth=1
	s_cvt_f32_u32 s2, s20
	s_cvt_f32_u32 s23, s21
	s_sub_nc_u64 s[26:27], 0, s[20:21]
	s_wait_alu 0xfffe
	s_delay_alu instid0(SALU_CYCLE_1) | instskip(SKIP_1) | instid1(SALU_CYCLE_2)
	s_fmamk_f32 s2, s23, 0x4f800000, s2
	s_wait_alu 0xfffe
	v_s_rcp_f32 s2, s2
	s_delay_alu instid0(TRANS32_DEP_1) | instskip(SKIP_1) | instid1(SALU_CYCLE_2)
	s_mul_f32 s2, s2, 0x5f7ffffc
	s_wait_alu 0xfffe
	s_mul_f32 s23, s2, 0x2f800000
	s_wait_alu 0xfffe
	s_delay_alu instid0(SALU_CYCLE_2) | instskip(SKIP_1) | instid1(SALU_CYCLE_2)
	s_trunc_f32 s23, s23
	s_wait_alu 0xfffe
	s_fmamk_f32 s2, s23, 0xcf800000, s2
	s_cvt_u32_f32 s25, s23
	s_wait_alu 0xfffe
	s_delay_alu instid0(SALU_CYCLE_1) | instskip(SKIP_1) | instid1(SALU_CYCLE_2)
	s_cvt_u32_f32 s24, s2
	s_wait_alu 0xfffe
	s_mul_u64 s[28:29], s[26:27], s[24:25]
	s_wait_alu 0xfffe
	s_mul_hi_u32 s31, s24, s29
	s_mul_i32 s30, s24, s29
	s_mul_hi_u32 s2, s24, s28
	s_mul_i32 s33, s25, s28
	s_wait_alu 0xfffe
	s_add_nc_u64 s[30:31], s[2:3], s[30:31]
	s_mul_hi_u32 s23, s25, s28
	s_mul_hi_u32 s34, s25, s29
	s_add_co_u32 s2, s30, s33
	s_wait_alu 0xfffe
	s_add_co_ci_u32 s2, s31, s23
	s_mul_i32 s28, s25, s29
	s_add_co_ci_u32 s29, s34, 0
	s_wait_alu 0xfffe
	s_add_nc_u64 s[28:29], s[2:3], s[28:29]
	s_wait_alu 0xfffe
	v_add_co_u32 v4, s2, s24, s28
	s_delay_alu instid0(VALU_DEP_1) | instskip(SKIP_1) | instid1(VALU_DEP_1)
	s_cmp_lg_u32 s2, 0
	s_add_co_ci_u32 s25, s25, s29
	v_readfirstlane_b32 s24, v4
	s_wait_alu 0xfffe
	s_delay_alu instid0(VALU_DEP_1)
	s_mul_u64 s[26:27], s[26:27], s[24:25]
	s_wait_alu 0xfffe
	s_mul_hi_u32 s29, s24, s27
	s_mul_i32 s28, s24, s27
	s_mul_hi_u32 s2, s24, s26
	s_mul_i32 s30, s25, s26
	s_wait_alu 0xfffe
	s_add_nc_u64 s[28:29], s[2:3], s[28:29]
	s_mul_hi_u32 s23, s25, s26
	s_mul_hi_u32 s24, s25, s27
	s_wait_alu 0xfffe
	s_add_co_u32 s2, s28, s30
	s_add_co_ci_u32 s2, s29, s23
	s_mul_i32 s26, s25, s27
	s_add_co_ci_u32 s27, s24, 0
	s_wait_alu 0xfffe
	s_add_nc_u64 s[26:27], s[2:3], s[26:27]
	s_wait_alu 0xfffe
	v_add_co_u32 v4, s2, v4, s26
	s_delay_alu instid0(VALU_DEP_1) | instskip(SKIP_1) | instid1(VALU_DEP_1)
	s_cmp_lg_u32 s2, 0
	s_add_co_ci_u32 s2, s25, s27
	v_mul_hi_u32 v13, v5, v4
	s_wait_alu 0xfffe
	v_mad_co_u64_u32 v[7:8], null, v5, s2, 0
	v_mad_co_u64_u32 v[9:10], null, v6, v4, 0
	;; [unrolled: 1-line block ×3, first 2 shown]
	s_delay_alu instid0(VALU_DEP_3) | instskip(SKIP_1) | instid1(VALU_DEP_4)
	v_add_co_u32 v4, vcc_lo, v13, v7
	s_wait_alu 0xfffd
	v_add_co_ci_u32_e32 v7, vcc_lo, 0, v8, vcc_lo
	s_delay_alu instid0(VALU_DEP_2) | instskip(SKIP_1) | instid1(VALU_DEP_2)
	v_add_co_u32 v4, vcc_lo, v4, v9
	s_wait_alu 0xfffd
	v_add_co_ci_u32_e32 v4, vcc_lo, v7, v10, vcc_lo
	s_wait_alu 0xfffd
	v_add_co_ci_u32_e32 v7, vcc_lo, 0, v12, vcc_lo
	s_delay_alu instid0(VALU_DEP_2) | instskip(SKIP_1) | instid1(VALU_DEP_2)
	v_add_co_u32 v4, vcc_lo, v4, v11
	s_wait_alu 0xfffd
	v_add_co_ci_u32_e32 v9, vcc_lo, 0, v7, vcc_lo
	s_delay_alu instid0(VALU_DEP_2) | instskip(SKIP_1) | instid1(VALU_DEP_3)
	v_mul_lo_u32 v10, s21, v4
	v_mad_co_u64_u32 v[7:8], null, s20, v4, 0
	v_mul_lo_u32 v11, s20, v9
	s_delay_alu instid0(VALU_DEP_2) | instskip(NEXT) | instid1(VALU_DEP_2)
	v_sub_co_u32 v7, vcc_lo, v5, v7
	v_add3_u32 v8, v8, v11, v10
	s_delay_alu instid0(VALU_DEP_1) | instskip(SKIP_1) | instid1(VALU_DEP_1)
	v_sub_nc_u32_e32 v10, v6, v8
	s_wait_alu 0xfffd
	v_subrev_co_ci_u32_e64 v10, s2, s21, v10, vcc_lo
	v_add_co_u32 v11, s2, v4, 2
	s_wait_alu 0xf1ff
	v_add_co_ci_u32_e64 v12, s2, 0, v9, s2
	v_sub_co_u32 v13, s2, v7, s20
	v_sub_co_ci_u32_e32 v8, vcc_lo, v6, v8, vcc_lo
	s_wait_alu 0xf1ff
	v_subrev_co_ci_u32_e64 v10, s2, 0, v10, s2
	s_delay_alu instid0(VALU_DEP_3) | instskip(NEXT) | instid1(VALU_DEP_3)
	v_cmp_le_u32_e32 vcc_lo, s20, v13
	v_cmp_eq_u32_e64 s2, s21, v8
	s_wait_alu 0xfffd
	v_cndmask_b32_e64 v13, 0, -1, vcc_lo
	v_cmp_le_u32_e32 vcc_lo, s21, v10
	s_wait_alu 0xfffd
	v_cndmask_b32_e64 v14, 0, -1, vcc_lo
	v_cmp_le_u32_e32 vcc_lo, s20, v7
	;; [unrolled: 3-line block ×3, first 2 shown]
	s_wait_alu 0xfffd
	v_cndmask_b32_e64 v15, 0, -1, vcc_lo
	v_cmp_eq_u32_e32 vcc_lo, s21, v10
	s_wait_alu 0xf1ff
	s_delay_alu instid0(VALU_DEP_2)
	v_cndmask_b32_e64 v7, v15, v7, s2
	s_wait_alu 0xfffd
	v_cndmask_b32_e32 v10, v14, v13, vcc_lo
	v_add_co_u32 v13, vcc_lo, v4, 1
	s_wait_alu 0xfffd
	v_add_co_ci_u32_e32 v14, vcc_lo, 0, v9, vcc_lo
	s_delay_alu instid0(VALU_DEP_3) | instskip(SKIP_2) | instid1(VALU_DEP_3)
	v_cmp_ne_u32_e32 vcc_lo, 0, v10
	s_wait_alu 0xfffd
	v_cndmask_b32_e32 v10, v13, v11, vcc_lo
	v_cndmask_b32_e32 v8, v14, v12, vcc_lo
	v_cmp_ne_u32_e32 vcc_lo, 0, v7
	s_wait_alu 0xfffd
	s_delay_alu instid0(VALU_DEP_2)
	v_dual_cndmask_b32 v7, v4, v10 :: v_dual_cndmask_b32 v8, v9, v8
.LBB0_4:                                ;   in Loop: Header=BB0_2 Depth=1
	s_wait_alu 0xfffe
	s_and_not1_saveexec_b32 s2, s22
	s_cbranch_execz .LBB0_6
; %bb.5:                                ;   in Loop: Header=BB0_2 Depth=1
	v_cvt_f32_u32_e32 v4, s20
	s_sub_co_i32 s22, 0, s20
	s_delay_alu instid0(VALU_DEP_1) | instskip(NEXT) | instid1(TRANS32_DEP_1)
	v_rcp_iflag_f32_e32 v4, v4
	v_mul_f32_e32 v4, 0x4f7ffffe, v4
	s_delay_alu instid0(VALU_DEP_1) | instskip(SKIP_1) | instid1(VALU_DEP_1)
	v_cvt_u32_f32_e32 v4, v4
	s_wait_alu 0xfffe
	v_mul_lo_u32 v7, s22, v4
	s_delay_alu instid0(VALU_DEP_1) | instskip(NEXT) | instid1(VALU_DEP_1)
	v_mul_hi_u32 v7, v4, v7
	v_add_nc_u32_e32 v4, v4, v7
	s_delay_alu instid0(VALU_DEP_1) | instskip(NEXT) | instid1(VALU_DEP_1)
	v_mul_hi_u32 v4, v5, v4
	v_mul_lo_u32 v7, v4, s20
	v_add_nc_u32_e32 v8, 1, v4
	s_delay_alu instid0(VALU_DEP_2) | instskip(NEXT) | instid1(VALU_DEP_1)
	v_sub_nc_u32_e32 v7, v5, v7
	v_subrev_nc_u32_e32 v9, s20, v7
	v_cmp_le_u32_e32 vcc_lo, s20, v7
	s_wait_alu 0xfffd
	s_delay_alu instid0(VALU_DEP_2) | instskip(NEXT) | instid1(VALU_DEP_1)
	v_dual_cndmask_b32 v7, v7, v9 :: v_dual_cndmask_b32 v4, v4, v8
	v_cmp_le_u32_e32 vcc_lo, s20, v7
	s_delay_alu instid0(VALU_DEP_2) | instskip(SKIP_1) | instid1(VALU_DEP_1)
	v_add_nc_u32_e32 v8, 1, v4
	s_wait_alu 0xfffd
	v_dual_cndmask_b32 v7, v4, v8 :: v_dual_mov_b32 v8, v3
.LBB0_6:                                ;   in Loop: Header=BB0_2 Depth=1
	s_wait_alu 0xfffe
	s_or_b32 exec_lo, exec_lo, s2
	s_load_b64 s[22:23], s[14:15], 0x0
	s_delay_alu instid0(VALU_DEP_1)
	v_mul_lo_u32 v4, v8, s20
	v_mul_lo_u32 v11, v7, s21
	v_mad_co_u64_u32 v[9:10], null, v7, s20, 0
	s_add_nc_u64 s[16:17], s[16:17], 1
	s_add_nc_u64 s[14:15], s[14:15], 8
	s_wait_alu 0xfffe
	v_cmp_ge_u64_e64 s2, s[16:17], s[6:7]
	s_add_nc_u64 s[18:19], s[18:19], 8
	s_delay_alu instid0(VALU_DEP_2) | instskip(NEXT) | instid1(VALU_DEP_3)
	v_add3_u32 v4, v10, v11, v4
	v_sub_co_u32 v5, vcc_lo, v5, v9
	s_wait_alu 0xfffd
	s_delay_alu instid0(VALU_DEP_2) | instskip(SKIP_3) | instid1(VALU_DEP_2)
	v_sub_co_ci_u32_e32 v4, vcc_lo, v6, v4, vcc_lo
	s_and_b32 vcc_lo, exec_lo, s2
	s_wait_kmcnt 0x0
	v_mul_lo_u32 v6, s23, v5
	v_mul_lo_u32 v4, s22, v4
	v_mad_co_u64_u32 v[1:2], null, s22, v5, v[1:2]
	s_delay_alu instid0(VALU_DEP_1)
	v_add3_u32 v2, v6, v2, v4
	s_wait_alu 0xfffe
	s_cbranch_vccnz .LBB0_9
; %bb.7:                                ;   in Loop: Header=BB0_2 Depth=1
	v_dual_mov_b32 v5, v7 :: v_dual_mov_b32 v6, v8
	s_branch .LBB0_2
.LBB0_8:
	v_dual_mov_b32 v8, v6 :: v_dual_mov_b32 v7, v5
.LBB0_9:
	s_lshl_b64 s[2:3], s[6:7], 3
	v_mul_hi_u32 v3, 0x8888889, v0
	s_wait_alu 0xfffe
	s_add_nc_u64 s[2:3], s[12:13], s[2:3]
                                        ; implicit-def: $vgpr62_vgpr63
                                        ; implicit-def: $vgpr58_vgpr59
                                        ; implicit-def: $vgpr70_vgpr71
                                        ; implicit-def: $vgpr66_vgpr67
                                        ; implicit-def: $vgpr78_vgpr79
                                        ; implicit-def: $vgpr74_vgpr75
                                        ; implicit-def: $vgpr54_vgpr55
                                        ; implicit-def: $vgpr42_vgpr43
                                        ; implicit-def: $vgpr14_vgpr15
                                        ; implicit-def: $vgpr10_vgpr11
                                        ; implicit-def: $vgpr30_vgpr31
                                        ; implicit-def: $vgpr26_vgpr27
                                        ; implicit-def: $vgpr34_vgpr35
                                        ; implicit-def: $vgpr38_vgpr39
                                        ; implicit-def: $vgpr46_vgpr47
                                        ; implicit-def: $vgpr50_vgpr51
                                        ; implicit-def: $vgpr22_vgpr23
                                        ; implicit-def: $vgpr18_vgpr19
	s_load_b64 s[2:3], s[2:3], 0x0
	s_load_b64 s[0:1], s[0:1], 0x20
	s_delay_alu instid0(VALU_DEP_1) | instskip(NEXT) | instid1(VALU_DEP_1)
	v_mul_u32_u24_e32 v3, 30, v3
	v_sub_nc_u32_e32 v119, v0, v3
	s_delay_alu instid0(VALU_DEP_1)
	v_add_nc_u32_e32 v118, 0x5a, v119
	v_add_nc_u32_e32 v121, 0xb4, v119
	;; [unrolled: 1-line block ×3, first 2 shown]
	s_wait_kmcnt 0x0
	v_mul_lo_u32 v4, s2, v8
	v_mul_lo_u32 v5, s3, v7
	v_mad_co_u64_u32 v[1:2], null, s2, v7, v[1:2]
	v_cmp_gt_u64_e32 vcc_lo, s[0:1], v[7:8]
                                        ; implicit-def: $vgpr6_vgpr7
	s_delay_alu instid0(VALU_DEP_2) | instskip(NEXT) | instid1(VALU_DEP_1)
	v_add3_u32 v2, v5, v2, v4
	v_lshlrev_b64_e32 v[100:101], 4, v[1:2]
                                        ; implicit-def: $vgpr2_vgpr3
	s_and_saveexec_b32 s1, vcc_lo
	s_cbranch_execz .LBB0_13
; %bb.10:
	v_add_nc_u32_e32 v6, 45, v119
	v_mad_co_u64_u32 v[0:1], null, s8, v119, 0
	v_mad_co_u64_u32 v[8:9], null, s8, v118, 0
	s_delay_alu instid0(VALU_DEP_3)
	v_mad_co_u64_u32 v[2:3], null, s8, v6, 0
	v_add_nc_u32_e32 v7, 0x87, v119
	v_add_co_u32 v58, s0, s10, v100
	s_wait_alu 0xf1ff
	v_add_co_ci_u32_e64 v59, s0, s11, v101, s0
	v_add_nc_u32_e32 v29, 0x10e, v119
	v_mad_co_u64_u32 v[4:5], null, s9, v119, v[1:2]
	v_mov_b32_e32 v1, v3
	s_mov_b32 s2, exec_lo
	s_delay_alu instid0(VALU_DEP_3) | instskip(SKIP_1) | instid1(VALU_DEP_3)
	v_mad_co_u64_u32 v[24:25], null, s8, v29, 0
                                        ; implicit-def: $vgpr40_vgpr41
                                        ; implicit-def: $vgpr52_vgpr53
                                        ; implicit-def: $vgpr72_vgpr73
                                        ; implicit-def: $vgpr76_vgpr77
                                        ; implicit-def: $vgpr64_vgpr65
                                        ; implicit-def: $vgpr68_vgpr69
                                        ; implicit-def: $vgpr56_vgpr57
                                        ; implicit-def: $vgpr60_vgpr61
	v_add_nc_u32_e32 v18, 0xe1, v119
	v_mad_co_u64_u32 v[5:6], null, s9, v6, v[1:2]
	v_dual_mov_b32 v1, v4 :: v_dual_mov_b32 v4, v9
	v_mad_co_u64_u32 v[10:11], null, s8, v7, 0
	s_delay_alu instid0(VALU_DEP_4) | instskip(NEXT) | instid1(VALU_DEP_4)
	v_mad_co_u64_u32 v[14:15], null, s8, v18, 0
	v_mov_b32_e32 v3, v5
	s_delay_alu instid0(VALU_DEP_4) | instskip(SKIP_4) | instid1(VALU_DEP_3)
	v_mad_co_u64_u32 v[4:5], null, s9, v118, v[4:5]
	v_add_nc_u32_e32 v30, 0x13b, v119
	v_mov_b32_e32 v6, v11
	v_lshlrev_b64_e32 v[0:1], 4, v[0:1]
	v_lshlrev_b64_e32 v[2:3], 4, v[2:3]
	v_mad_co_u64_u32 v[11:12], null, s9, v7, v[6:7]
	v_mad_co_u64_u32 v[12:13], null, s8, v121, 0
	v_mov_b32_e32 v9, v4
	v_add_co_u32 v0, s0, v58, v0
	s_wait_alu 0xf1ff
	v_add_co_ci_u32_e64 v1, s0, v59, v1, s0
	s_delay_alu instid0(VALU_DEP_3)
	v_lshlrev_b64_e32 v[8:9], 4, v[8:9]
	v_mad_co_u64_u32 v[16:17], null, s9, v121, v[13:14]
	v_add_co_u32 v5, s0, v58, v2
	v_lshlrev_b64_e32 v[10:11], 4, v[10:11]
	v_mov_b32_e32 v13, v15
	s_wait_alu 0xf1ff
	v_add_co_ci_u32_e64 v6, s0, v59, v3, s0
	v_add_co_u32 v8, s0, v58, v8
	s_wait_alu 0xf1ff
	v_add_co_ci_u32_e64 v9, s0, v59, v9, s0
	v_add_co_u32 v10, s0, v58, v10
	v_mad_co_u64_u32 v[26:27], null, s9, v18, v[13:14]
	v_mov_b32_e32 v13, v16
	v_mad_co_u64_u32 v[27:28], null, s8, v30, 0
	s_wait_alu 0xf1ff
	v_add_co_ci_u32_e64 v11, s0, v59, v11, s0
	s_clause 0x3
	global_load_b128 v[0:3], v[0:1], off
	global_load_b128 v[4:7], v[5:6], off
	;; [unrolled: 1-line block ×4, first 2 shown]
	v_lshlrev_b64_e32 v[8:9], 4, v[12:13]
	v_mad_co_u64_u32 v[12:13], null, s8, v120, 0
	v_mad_co_u64_u32 v[10:11], null, s9, v29, v[25:26]
	v_mov_b32_e32 v11, v28
	v_dual_mov_b32 v15, v26 :: v_dual_add_nc_u32 v26, 0x195, v119
	v_add_co_u32 v8, s0, v58, v8
	s_delay_alu instid0(VALU_DEP_3) | instskip(NEXT) | instid1(VALU_DEP_3)
	v_mad_co_u64_u32 v[28:29], null, s9, v30, v[11:12]
	v_mad_co_u64_u32 v[29:30], null, s8, v26, 0
	v_mov_b32_e32 v11, v13
	v_lshlrev_b64_e32 v[13:14], 4, v[14:15]
	v_mov_b32_e32 v25, v10
	s_wait_alu 0xf1ff
	v_add_co_ci_u32_e64 v9, s0, v59, v9, s0
	v_mad_co_u64_u32 v[10:11], null, s9, v120, v[11:12]
	v_mov_b32_e32 v11, v30
	v_add_co_u32 v31, s0, v58, v13
	s_wait_alu 0xf1ff
	v_add_co_ci_u32_e64 v32, s0, v59, v14, s0
	v_lshlrev_b64_e32 v[14:15], 4, v[24:25]
	v_mad_co_u64_u32 v[24:25], null, s9, v26, v[11:12]
	v_mov_b32_e32 v13, v10
	v_lshlrev_b64_e32 v[25:26], 4, v[27:28]
	s_delay_alu instid0(VALU_DEP_4) | instskip(NEXT) | instid1(VALU_DEP_3)
	v_add_co_u32 v10, s0, v58, v14
	v_lshlrev_b64_e32 v[12:13], 4, v[12:13]
	v_mov_b32_e32 v30, v24
	s_wait_alu 0xf1ff
	v_add_co_ci_u32_e64 v11, s0, v59, v15, s0
	v_add_co_u32 v14, s0, v58, v25
	s_delay_alu instid0(VALU_DEP_3)
	v_lshlrev_b64_e32 v[24:25], 4, v[29:30]
	s_wait_alu 0xf1ff
	v_add_co_ci_u32_e64 v15, s0, v59, v26, s0
	v_add_co_u32 v12, s0, v58, v12
	s_wait_alu 0xf1ff
	v_add_co_ci_u32_e64 v13, s0, v59, v13, s0
	v_add_co_u32 v28, s0, v58, v24
	s_wait_alu 0xf1ff
	v_add_co_ci_u32_e64 v29, s0, v59, v25, s0
	s_clause 0x5
	global_load_b128 v[48:51], v[8:9], off
	global_load_b128 v[44:47], v[31:32], off
	;; [unrolled: 1-line block ×6, first 2 shown]
                                        ; implicit-def: $vgpr8_vgpr9
                                        ; implicit-def: $vgpr12_vgpr13
	v_cmpx_gt_u32_e32 15, v119
	s_cbranch_execz .LBB0_12
; %bb.11:
	v_add_nc_u32_e32 v54, 0xa5, v119
	v_add_nc_u32_e32 v42, 0x4b, v119
	v_add_nc_u32_e32 v55, 0xff, v119
	v_add_nc_u32_e32 v67, 0x12c, v119
	v_add_nc_u32_e32 v69, 0x159, v119
	v_mad_co_u64_u32 v[40:41], null, s8, v54, 0
	v_add_nc_u32_e32 v52, 0x78, v119
	v_mad_co_u64_u32 v[10:11], null, s8, v42, 0
	v_mad_co_u64_u32 v[60:61], null, s8, v55, 0
	s_delay_alu instid0(VALU_DEP_3) | instskip(SKIP_4) | instid1(VALU_DEP_4)
	v_mad_co_u64_u32 v[12:13], null, s8, v52, 0
	v_add_nc_u32_e32 v14, 30, v119
	v_mad_co_u64_u32 v[62:63], null, s8, v67, 0
	v_add_nc_u32_e32 v73, 0x1b3, v119
	v_add_nc_u32_e32 v72, 0x186, v119
	v_mad_co_u64_u32 v[8:9], null, s8, v14, 0
	s_delay_alu instid0(VALU_DEP_1) | instskip(SKIP_2) | instid1(VALU_DEP_2)
	v_mad_co_u64_u32 v[14:15], null, s9, v14, v[9:10]
	v_mov_b32_e32 v9, v13
	v_mov_b32_e32 v13, v41
	v_mad_co_u64_u32 v[52:53], null, s9, v52, v[9:10]
	s_delay_alu instid0(VALU_DEP_4) | instskip(SKIP_2) | instid1(VALU_DEP_3)
	v_mov_b32_e32 v9, v14
	v_mad_co_u64_u32 v[42:43], null, s9, v42, v[11:12]
	v_add_nc_u32_e32 v53, 0xd2, v119
	v_lshlrev_b64_e32 v[8:9], 4, v[8:9]
	s_delay_alu instid0(VALU_DEP_2) | instskip(NEXT) | instid1(VALU_DEP_4)
	v_mad_co_u64_u32 v[56:57], null, s8, v53, 0
	v_mov_b32_e32 v11, v42
	v_mad_co_u64_u32 v[41:42], null, s9, v54, v[13:14]
	v_mov_b32_e32 v13, v52
	v_add_co_u32 v8, s0, v58, v8
	s_delay_alu instid0(VALU_DEP_4)
	v_lshlrev_b64_e32 v[10:11], 4, v[10:11]
	s_wait_alu 0xf1ff
	v_add_co_ci_u32_e64 v9, s0, v59, v9, s0
	v_lshlrev_b64_e32 v[42:43], 4, v[12:13]
	v_mov_b32_e32 v52, v57
	v_lshlrev_b64_e32 v[40:41], 4, v[40:41]
	v_add_co_u32 v14, s0, v58, v10
	s_wait_alu 0xf1ff
	v_add_co_ci_u32_e64 v15, s0, v59, v11, s0
	v_add_co_u32 v42, s0, v58, v42
	s_wait_alu 0xf1ff
	v_add_co_ci_u32_e64 v43, s0, v59, v43, s0
	v_mad_co_u64_u32 v[52:53], null, s9, v53, v[52:53]
	v_add_co_u32 v53, s0, v58, v40
	v_mov_b32_e32 v40, v61
	s_wait_alu 0xf1ff
	v_add_co_ci_u32_e64 v54, s0, v59, v41, s0
	s_clause 0x1
	global_load_b128 v[8:11], v[8:9], off
	global_load_b128 v[12:15], v[14:15], off
	v_mov_b32_e32 v57, v52
	v_mad_co_u64_u32 v[64:65], null, s9, v55, v[40:41]
	v_mad_co_u64_u32 v[65:66], null, s8, v69, 0
	s_delay_alu instid0(VALU_DEP_3)
	v_lshlrev_b64_e32 v[56:57], 4, v[56:57]
	s_clause 0x1
	global_load_b128 v[40:43], v[42:43], off
	global_load_b128 v[52:55], v[53:54], off
	v_mov_b32_e32 v61, v64
	v_mad_co_u64_u32 v[63:64], null, s9, v67, v[63:64]
	v_mov_b32_e32 v64, v66
	v_mad_co_u64_u32 v[67:68], null, s8, v72, 0
	v_add_co_u32 v56, s0, v58, v56
	s_delay_alu instid0(VALU_DEP_3) | instskip(SKIP_1) | instid1(VALU_DEP_4)
	v_mad_co_u64_u32 v[69:70], null, s9, v69, v[64:65]
	v_mad_co_u64_u32 v[70:71], null, s8, v73, 0
	v_mov_b32_e32 v64, v68
	v_lshlrev_b64_e32 v[62:63], 4, v[62:63]
	s_wait_alu 0xf1ff
	v_add_co_ci_u32_e64 v57, s0, v59, v57, s0
	v_mov_b32_e32 v66, v69
	v_lshlrev_b64_e32 v[60:61], 4, v[60:61]
	v_mad_co_u64_u32 v[68:69], null, s9, v72, v[64:65]
	v_mov_b32_e32 v64, v71
	s_delay_alu instid0(VALU_DEP_3) | instskip(NEXT) | instid1(VALU_DEP_2)
	v_add_co_u32 v60, s0, v58, v60
	v_mad_co_u64_u32 v[71:72], null, s9, v73, v[64:65]
	v_lshlrev_b64_e32 v[64:65], 4, v[65:66]
	s_wait_alu 0xf1ff
	v_add_co_ci_u32_e64 v61, s0, v59, v61, s0
	v_add_co_u32 v62, s0, v58, v62
	s_wait_alu 0xf1ff
	v_add_co_ci_u32_e64 v63, s0, v59, v63, s0
	v_lshlrev_b64_e32 v[66:67], 4, v[67:68]
	v_add_co_u32 v68, s0, v58, v64
	s_wait_alu 0xf1ff
	v_add_co_ci_u32_e64 v69, s0, v59, v65, s0
	v_lshlrev_b64_e32 v[64:65], 4, v[70:71]
	s_delay_alu instid0(VALU_DEP_4) | instskip(SKIP_2) | instid1(VALU_DEP_3)
	v_add_co_u32 v80, s0, v58, v66
	s_wait_alu 0xf1ff
	v_add_co_ci_u32_e64 v81, s0, v59, v67, s0
	v_add_co_u32 v82, s0, v58, v64
	s_wait_alu 0xf1ff
	v_add_co_ci_u32_e64 v83, s0, v59, v65, s0
	s_clause 0x5
	global_load_b128 v[72:75], v[56:57], off
	global_load_b128 v[76:79], v[60:61], off
	;; [unrolled: 1-line block ×6, first 2 shown]
.LBB0_12:
	s_wait_alu 0xfffe
	s_or_b32 exec_lo, exec_lo, s2
.LBB0_13:
	s_wait_alu 0xfffe
	s_or_b32 exec_lo, exec_lo, s1
	s_wait_loadcnt 0x2
	v_add_f64_e32 v[80:81], v[34:35], v[46:47]
	s_wait_loadcnt 0x0
	v_add_f64_e32 v[82:83], v[30:31], v[22:23]
	v_add_f64_e32 v[84:85], v[32:33], v[44:45]
	;; [unrolled: 1-line block ×3, first 2 shown]
	v_add_f64_e64 v[88:89], v[20:21], -v[28:29]
	v_add_f64_e64 v[90:91], v[44:45], -v[32:33]
	s_mov_b32 s6, 0x134454ff
	s_mov_b32 s7, 0xbfee6f0e
	;; [unrolled: 1-line block ×3, first 2 shown]
	s_wait_alu 0xfffe
	s_mov_b32 s2, s6
	v_add_f64_e32 v[92:93], v[36:37], v[48:49]
	v_add_f64_e32 v[94:95], v[24:25], v[16:17]
	v_add_f64_e64 v[96:97], v[22:23], -v[46:47]
	v_add_f64_e64 v[98:99], v[30:31], -v[34:35]
	;; [unrolled: 1-line block ×6, first 2 shown]
	s_mov_b32 s14, 0x4755a5e
	s_mov_b32 s15, 0xbfe2cf23
	;; [unrolled: 1-line block ×4, first 2 shown]
	v_add_f64_e64 v[115:116], v[18:19], -v[26:27]
	v_add_f64_e64 v[122:123], v[20:21], -v[44:45]
	;; [unrolled: 1-line block ×6, first 2 shown]
	v_add_f64_e32 v[132:133], v[16:17], v[0:1]
	v_add_f64_e32 v[134:135], v[60:61], v[52:53]
	;; [unrolled: 1-line block ×4, first 2 shown]
	s_mov_b32 s16, 0x372fe950
	s_mov_b32 s17, 0x3fd3c6ef
	v_add_f64_e64 v[140:141], v[36:37], -v[24:25]
	v_add_f64_e64 v[142:143], v[52:53], -v[76:77]
	;; [unrolled: 1-line block ×4, first 2 shown]
	v_fma_f64 v[80:81], v[80:81], -0.5, v[6:7]
	v_fma_f64 v[82:83], v[82:83], -0.5, v[6:7]
	;; [unrolled: 1-line block ×4, first 2 shown]
	v_add_f64_e32 v[4:5], v[20:21], v[4:5]
	v_add_f64_e32 v[20:21], v[68:69], v[76:77]
	v_add_f64_e64 v[148:149], v[78:79], -v[70:71]
	v_add_f64_e64 v[150:151], v[52:53], -v[60:61]
	v_add_f64_e64 v[154:155], v[76:77], -v[68:69]
	v_add_f64_e64 v[158:159], v[70:71], -v[62:63]
	v_fma_f64 v[92:93], v[92:93], -0.5, v[0:1]
	v_fma_f64 v[0:1], v[94:95], -0.5, v[0:1]
	s_mov_b32 s18, 0x9b97f4a8
	v_add_f64_e32 v[96:97], v[98:99], v[96:97]
	s_mov_b32 s19, 0x3fe9e377
	s_mov_b32 s23, 0xbfe9e377
	v_add_f64_e32 v[94:95], v[107:108], v[105:106]
	s_mov_b32 s22, s18
	s_mov_b32 s21, 0xbfd3c6ef
	s_wait_alu 0xfffe
	s_mov_b32 s20, s16
	v_cmp_gt_u32_e64 s0, 15, v119
	v_add_f64_e32 v[122:123], v[124:125], v[122:123]
	v_add_f64_e32 v[128:129], v[130:131], v[128:129]
	;; [unrolled: 1-line block ×3, first 2 shown]
	v_fma_f64 v[134:135], v[134:135], -0.5, v[12:13]
	v_fma_f64 v[124:125], v[136:137], -0.5, v[14:15]
	;; [unrolled: 1-line block ×3, first 2 shown]
	v_fma_f64 v[111:112], v[88:89], s[2:3], v[80:81]
	v_fma_f64 v[80:81], v[88:89], s[6:7], v[80:81]
	;; [unrolled: 1-line block ×8, first 2 shown]
	v_add_f64_e32 v[44:45], v[44:45], v[4:5]
	v_fma_f64 v[152:153], v[20:21], -0.5, v[12:13]
	v_fma_f64 v[136:137], v[115:116], s[6:7], v[92:93]
	v_fma_f64 v[92:93], v[115:116], s[2:3], v[92:93]
	;; [unrolled: 1-line block ×9, first 2 shown]
	v_add_f64_e64 v[88:89], v[16:17], -v[48:49]
	v_add_f64_e64 v[90:91], v[24:25], -v[36:37]
	;; [unrolled: 1-line block ×3, first 2 shown]
	v_fma_f64 v[98:99], v[109:110], s[14:15], v[98:99]
	v_fma_f64 v[84:85], v[109:110], s[12:13], v[84:85]
	;; [unrolled: 1-line block ×3, first 2 shown]
	v_add_f64_e64 v[109:110], v[62:63], -v[70:71]
	v_add_f64_e32 v[44:45], v[32:33], v[44:45]
	v_fma_f64 v[136:137], v[126:127], s[14:15], v[136:137]
	v_fma_f64 v[92:93], v[126:127], s[12:13], v[92:93]
	;; [unrolled: 1-line block ×9, first 2 shown]
	v_add_f64_e64 v[80:81], v[76:77], -v[52:53]
	v_add_f64_e64 v[82:83], v[68:69], -v[60:61]
	;; [unrolled: 1-line block ×4, first 2 shown]
	v_add_f64_e32 v[88:89], v[90:91], v[88:89]
	v_add_f64_e32 v[90:91], v[140:141], v[113:114]
	;; [unrolled: 1-line block ×4, first 2 shown]
	v_fma_f64 v[132:133], v[146:147], s[6:7], v[152:153]
	v_fma_f64 v[142:143], v[146:147], s[2:3], v[152:153]
	;; [unrolled: 1-line block ×9, first 2 shown]
	v_add_f64_e32 v[28:29], v[28:29], v[44:45]
	v_mul_f64_e32 v[84:85], s[14:15], v[0:1]
	v_fma_f64 v[98:99], v[128:129], s[16:17], v[105:106]
	v_mul_f64_e32 v[122:123], s[14:15], v[20:21]
	v_fma_f64 v[128:129], v[154:155], s[2:3], v[130:131]
	v_mul_f64_e32 v[105:106], s[6:7], v[4:5]
	v_mul_f64_e32 v[86:87], s[6:7], v[94:95]
	v_add_f64_e32 v[80:81], v[82:83], v[80:81]
	v_add_f64_e32 v[109:110], v[109:110], v[107:108]
	v_add_f64_e32 v[138:139], v[158:159], v[111:112]
	v_fma_f64 v[136:137], v[88:89], s[16:17], v[136:137]
	v_fma_f64 v[92:93], v[88:89], s[16:17], v[92:93]
	v_fma_f64 v[126:127], v[90:91], s[16:17], v[126:127]
	v_add_f64_e32 v[82:83], v[24:25], v[113:114]
	v_fma_f64 v[44:45], v[148:149], s[14:15], v[132:133]
	v_fma_f64 v[111:112], v[148:149], s[12:13], v[142:143]
	;; [unrolled: 1-line block ×12, first 2 shown]
	s_wait_alu 0xfffe
	v_fma_f64 v[146:147], v[96:97], s[20:21], v[86:87]
	v_add_f64_e32 v[107:108], v[28:29], v[82:83]
	v_add_f64_e64 v[113:114], v[82:83], -v[28:29]
	v_fma_f64 v[90:91], v[140:141], s[16:17], v[44:45]
	v_fma_f64 v[44:45], v[140:141], s[16:17], v[111:112]
	;; [unrolled: 1-line block ×7, first 2 shown]
	v_and_b32_e32 v28, 3, v104
	v_mul_u32_u24_e32 v29, 10, v119
	s_delay_alu instid0(VALU_DEP_2) | instskip(NEXT) | instid1(VALU_DEP_2)
	v_mul_u32_u24_e32 v28, 0x1c2, v28
	v_lshl_add_u32 v29, v29, 3, 0
	v_add_f64_e32 v[109:110], v[136:137], v[144:145]
	v_add_f64_e64 v[122:123], v[136:137], -v[144:145]
	v_add_f64_e32 v[111:112], v[92:93], v[148:149]
	v_add_f64_e64 v[132:133], v[92:93], -v[148:149]
	v_fma_f64 v[92:93], v[138:139], s[16:17], v[150:151]
	v_add_f64_e64 v[124:125], v[126:127], -v[105:106]
	v_add_f64_e32 v[126:127], v[126:127], v[105:106]
	v_add_f64_e32 v[128:129], v[115:116], v[146:147]
	v_add_f64_e64 v[130:131], v[115:116], -v[146:147]
	v_lshl_add_u32 v106, v28, 3, v29
	ds_store_b128 v106, v[107:110]
	ds_store_b128 v106, v[126:129] offset:16
	ds_store_b128 v106, v[111:114] offset:32
	;; [unrolled: 1-line block ×4, first 2 shown]
	s_and_saveexec_b32 s1, s0
	s_cbranch_execz .LBB0_15
; %bb.14:
	v_add_f64_e32 v[104:105], v[64:65], v[72:73]
	v_add_f64_e32 v[107:108], v[56:57], v[40:41]
	v_add_f64_e64 v[109:110], v[42:43], -v[58:59]
	v_add_f64_e32 v[111:112], v[40:41], v[8:9]
	v_add_f64_e32 v[12:13], v[52:53], v[12:13]
	v_add_f64_e64 v[52:53], v[74:75], -v[66:67]
	v_add_f64_e64 v[113:114], v[56:57], -v[64:65]
	;; [unrolled: 1-line block ×3, first 2 shown]
	v_mul_f64_e32 v[132:133], s[14:15], v[82:83]
	v_mul_f64_e32 v[126:127], s[14:15], v[86:87]
	;; [unrolled: 1-line block ×4, first 2 shown]
	v_fma_f64 v[104:105], v[104:105], -0.5, v[8:9]
	v_fma_f64 v[8:9], v[107:108], -0.5, v[8:9]
	v_add_f64_e64 v[107:108], v[40:41], -v[72:73]
	v_add_f64_e32 v[111:112], v[72:73], v[111:112]
	v_add_f64_e32 v[12:13], v[76:77], v[12:13]
	v_add_f64_e64 v[76:77], v[64:65], -v[56:57]
	v_fma_f64 v[122:123], v[109:110], s[2:3], v[104:105]
	v_fma_f64 v[104:105], v[109:110], s[6:7], v[104:105]
	;; [unrolled: 1-line block ×4, first 2 shown]
	v_add_f64_e32 v[107:108], v[113:114], v[107:108]
	v_add_f64_e32 v[111:112], v[64:65], v[111:112]
	;; [unrolled: 1-line block ×4, first 2 shown]
	v_fma_f64 v[115:116], v[80:81], s[20:21], v[128:129]
	v_fma_f64 v[76:77], v[52:53], s[12:13], v[122:123]
	;; [unrolled: 1-line block ×6, first 2 shown]
	v_add_f64_e32 v[111:112], v[56:57], v[111:112]
	v_add_f64_e32 v[12:13], v[60:61], v[12:13]
	v_fma_f64 v[60:61], v[90:91], s[18:19], v[132:133]
	v_fma_f64 v[122:123], v[88:89], s[16:17], v[130:131]
	;; [unrolled: 1-line block ×6, first 2 shown]
	v_add_f64_e64 v[109:110], v[111:112], -v[12:13]
	v_add_f64_e32 v[111:112], v[12:13], v[111:112]
	v_add_f64_e32 v[107:108], v[76:77], v[104:105]
	;; [unrolled: 1-line block ×5, first 2 shown]
	v_add_f64_e64 v[128:129], v[126:127], -v[122:123]
	v_add_f64_e64 v[126:127], v[52:53], -v[60:61]
	;; [unrolled: 1-line block ×4, first 2 shown]
	ds_store_b128 v106, v[111:114] offset:2400
	ds_store_b128 v106, v[130:133] offset:2416
	;; [unrolled: 1-line block ×5, first 2 shown]
.LBB0_15:
	s_wait_alu 0xfffe
	s_or_b32 exec_lo, exec_lo, s1
	v_add_f64_e32 v[8:9], v[38:39], v[50:51]
	v_add_f64_e32 v[12:13], v[26:27], v[18:19]
	;; [unrolled: 1-line block ×3, first 2 shown]
	v_add_f64_e64 v[16:17], v[16:17], -v[24:25]
	v_add_f64_e32 v[6:7], v[22:23], v[6:7]
	v_add_f64_e64 v[22:23], v[48:49], -v[36:37]
	v_add_f64_e64 v[24:25], v[26:27], -v[38:39]
	v_mul_f64_e32 v[60:61], s[2:3], v[98:99]
	v_mul_f64_e32 v[68:69], s[16:17], v[94:95]
	;; [unrolled: 1-line block ×3, first 2 shown]
	v_lshlrev_b32_e32 v127, 3, v28
	global_wb scope:SCOPE_SE
	s_wait_dscnt 0x0
	s_barrier_signal -1
	s_barrier_wait -1
	global_inv scope:SCOPE_SE
	v_add_nc_u32_e32 v122, 30, v119
	v_fma_f64 v[8:9], v[8:9], -0.5, v[2:3]
	v_fma_f64 v[2:3], v[12:13], -0.5, v[2:3]
	v_add_f64_e64 v[12:13], v[18:19], -v[50:51]
	v_add_f64_e32 v[36:37], v[50:51], v[52:53]
	v_add_f64_e32 v[6:7], v[46:47], v[6:7]
	v_add_f64_e64 v[18:19], v[50:51], -v[18:19]
	v_add_f64_e64 v[46:47], v[38:39], -v[26:27]
	v_mul_f64_e32 v[52:53], s[12:13], v[102:103]
	v_fma_f64 v[4:5], v[4:5], s[16:17], v[60:61]
	v_fma_f64 v[20:21], v[32:33], s[12:13], -v[20:21]
	v_fma_f64 v[48:49], v[16:17], s[2:3], v[8:9]
	v_fma_f64 v[50:51], v[22:23], s[6:7], v[2:3]
	v_fma_f64 v[2:3], v[22:23], s[2:3], v[2:3]
	v_fma_f64 v[8:9], v[16:17], s[6:7], v[8:9]
	v_add_f64_e32 v[12:13], v[24:25], v[12:13]
	v_add_f64_e32 v[24:25], v[38:39], v[36:37]
	;; [unrolled: 1-line block ×4, first 2 shown]
	v_fma_f64 v[0:1], v[0:1], s[18:19], v[52:53]
	v_fma_f64 v[34:35], v[22:23], s[12:13], v[48:49]
	v_fma_f64 v[36:37], v[16:17], s[12:13], v[50:51]
	v_fma_f64 v[2:3], v[16:17], s[14:15], v[2:3]
	v_fma_f64 v[8:9], v[22:23], s[14:15], v[8:9]
	v_fma_f64 v[16:17], v[96:97], s[2:3], -v[68:69]
	v_add_f64_e32 v[22:23], v[26:27], v[24:25]
	v_add_f64_e32 v[6:7], v[30:31], v[6:7]
	v_fma_f64 v[24:25], v[12:13], s[16:17], v[34:35]
	v_fma_f64 v[26:27], v[18:19], s[16:17], v[36:37]
	;; [unrolled: 1-line block ×4, first 2 shown]
	v_lshlrev_b32_e32 v12, 3, v119
	v_add_f64_e32 v[36:37], v[6:7], v[22:23]
	v_add_f64_e64 v[48:49], v[22:23], -v[6:7]
	s_delay_alu instid0(VALU_DEP_3)
	v_add3_u32 v123, 0, v127, v12
	ds_load_b64 v[104:105], v123
	v_add_f64_e32 v[38:39], v[24:25], v[0:1]
	v_add_f64_e32 v[50:51], v[26:27], v[4:5]
	;; [unrolled: 1-line block ×4, first 2 shown]
	v_add_f64_e64 v[94:95], v[24:25], -v[0:1]
	v_add_nc_u32_e32 v0, 0, v12
	v_add_f64_e64 v[96:97], v[26:27], -v[4:5]
	v_add_f64_e64 v[107:108], v[2:3], -v[16:17]
	;; [unrolled: 1-line block ×3, first 2 shown]
	s_delay_alu instid0(VALU_DEP_4) | instskip(NEXT) | instid1(VALU_DEP_1)
	v_add_nc_u32_e32 v124, v0, v127
	v_add_nc_u32_e32 v126, 0x800, v124
	ds_load_2addr_b64 v[28:31], v124 offset0:90 offset1:120
	ds_load_2addr_b64 v[24:27], v124 offset0:150 offset1:180
	;; [unrolled: 1-line block ×7, first 2 shown]
	global_wb scope:SCOPE_SE
	s_wait_dscnt 0x0
	s_barrier_signal -1
	s_barrier_wait -1
	global_inv scope:SCOPE_SE
	ds_store_b128 v106, v[36:39]
	ds_store_b128 v106, v[50:53] offset:16
	ds_store_b128 v106, v[46:49] offset:32
	;; [unrolled: 1-line block ×4, first 2 shown]
	s_and_saveexec_b32 s1, s0
	s_cbranch_execz .LBB0_17
; %bb.16:
	v_add_f64_e32 v[8:9], v[66:67], v[74:75]
	v_add_f64_e32 v[12:13], v[58:59], v[42:43]
	;; [unrolled: 1-line block ×3, first 2 shown]
	v_add_f64_e64 v[38:39], v[40:41], -v[56:57]
	v_add_f64_e32 v[14:15], v[54:55], v[14:15]
	v_add_f64_e64 v[40:41], v[72:73], -v[64:65]
	s_mov_b32 s2, 0x134454ff
	s_mov_b32 s3, 0x3fee6f0e
	s_mov_b32 s7, 0xbfee6f0e
	s_wait_alu 0xfffe
	s_mov_b32 s6, s2
	v_add_f64_e64 v[46:47], v[58:59], -v[66:67]
	v_add_f64_e64 v[48:49], v[66:67], -v[58:59]
	s_mov_b32 s16, 0x9b97f4a8
	s_mov_b32 s12, 0x372fe950
	;; [unrolled: 1-line block ×5, first 2 shown]
	s_wait_alu 0xfffe
	v_mul_f64_e32 v[64:65], s[16:17], v[86:87]
	v_mul_f64_e32 v[56:57], s[2:3], v[88:89]
	;; [unrolled: 1-line block ×3, first 2 shown]
	v_fma_f64 v[8:9], v[8:9], -0.5, v[10:11]
	v_fma_f64 v[10:11], v[12:13], -0.5, v[10:11]
	v_add_f64_e64 v[12:13], v[42:43], -v[74:75]
	v_add_f64_e32 v[36:37], v[74:75], v[36:37]
	v_add_f64_e32 v[14:15], v[78:79], v[14:15]
	v_add_f64_e64 v[42:43], v[74:75], -v[42:43]
	v_fma_f64 v[50:51], v[38:39], s[2:3], v[8:9]
	v_fma_f64 v[52:53], v[40:41], s[6:7], v[10:11]
	v_fma_f64 v[10:11], v[40:41], s[2:3], v[10:11]
	v_fma_f64 v[8:9], v[38:39], s[6:7], v[8:9]
	s_mov_b32 s6, 0x4755a5e
	s_mov_b32 s7, 0x3fe2cf23
	s_wait_alu 0xfffe
	s_mov_b32 s14, s6
	v_mul_f64_e32 v[54:55], s[6:7], v[90:91]
	v_add_f64_e32 v[12:13], v[46:47], v[12:13]
	v_add_f64_e32 v[36:37], v[66:67], v[36:37]
	;; [unrolled: 1-line block ×4, first 2 shown]
	v_fma_f64 v[46:47], v[40:41], s[6:7], v[50:51]
	v_fma_f64 v[48:49], v[38:39], s[6:7], v[52:53]
	s_wait_alu 0xfffe
	v_fma_f64 v[10:11], v[38:39], s[14:15], v[10:11]
	v_fma_f64 v[8:9], v[40:41], s[14:15], v[8:9]
	;; [unrolled: 1-line block ×3, first 2 shown]
	v_fma_f64 v[52:53], v[80:81], s[2:3], -v[60:61]
	v_fma_f64 v[40:41], v[82:83], s[16:17], v[54:55]
	v_fma_f64 v[54:55], v[44:45], s[6:7], -v[64:65]
	v_add_f64_e32 v[36:37], v[58:59], v[36:37]
	v_add_f64_e32 v[14:15], v[62:63], v[14:15]
	v_fma_f64 v[44:45], v[12:13], s[12:13], v[46:47]
	v_fma_f64 v[46:47], v[42:43], s[12:13], v[48:49]
	v_fma_f64 v[48:49], v[42:43], s[12:13], v[10:11]
	v_fma_f64 v[56:57], v[12:13], s[12:13], v[8:9]
	v_add_f64_e32 v[8:9], v[14:15], v[36:37]
	v_add_f64_e64 v[14:15], v[36:37], -v[14:15]
	v_add_f64_e32 v[10:11], v[44:45], v[40:41]
	v_add_f64_e32 v[36:37], v[46:47], v[50:51]
	;; [unrolled: 1-line block ×4, first 2 shown]
	v_add_f64_e64 v[40:41], v[44:45], -v[40:41]
	v_add_f64_e64 v[42:43], v[46:47], -v[50:51]
	;; [unrolled: 1-line block ×4, first 2 shown]
	v_mul_u32_u24_e32 v48, 10, v122
	s_delay_alu instid0(VALU_DEP_1) | instskip(NEXT) | instid1(VALU_DEP_1)
	v_lshlrev_b32_e32 v48, 3, v48
	v_add3_u32 v48, 0, v48, v127
	ds_store_b128 v48, v[8:11]
	ds_store_b128 v48, v[36:39] offset:16
	ds_store_b128 v48, v[12:15] offset:32
	;; [unrolled: 1-line block ×4, first 2 shown]
.LBB0_17:
	s_wait_alu 0xfffe
	s_or_b32 exec_lo, exec_lo, s1
	v_dual_mov_b32 v103, 0 :: v_dual_and_b32 v8, 0xff, v122
	v_and_b32_e32 v9, 0xff, v119
	v_add_nc_u32_e32 v125, 60, v119
	global_wb scope:SCOPE_SE
	s_wait_dscnt 0x0
	v_mul_lo_u16 v8, 0xcd, v8
	s_barrier_signal -1
	v_mul_lo_u16 v9, 0xcd, v9
	s_barrier_wait -1
	global_inv scope:SCOPE_SE
	v_lshrrev_b16 v133, 11, v8
	v_and_b32_e32 v8, 0xff, v125
	v_lshrrev_b16 v134, 11, v9
	v_lshlrev_b32_e32 v102, 1, v119
	v_cmp_gt_u32_e64 s0, 20, v119
	v_mul_lo_u16 v9, v133, 10
	v_mul_lo_u16 v8, 0xcd, v8
	;; [unrolled: 1-line block ×3, first 2 shown]
	v_add_nc_u32_e32 v128, 0x78, v119
	s_mov_b32 s6, 0x134454ff
	v_sub_nc_u16 v9, v122, v9
	v_lshrrev_b16 v132, 11, v8
	v_sub_nc_u16 v10, v119, v10
	s_mov_b32 s7, 0xbfee6f0e
	s_mov_b32 s13, 0x3fee6f0e
	v_and_b32_e32 v130, 0xff, v9
	v_mul_lo_u16 v8, v132, 10
	v_and_b32_e32 v131, 0xff, v10
	s_wait_alu 0xfffe
	s_mov_b32 s12, s6
	s_mov_b32 s14, 0x4755a5e
	v_lshlrev_b32_e32 v36, 6, v130
	v_sub_nc_u16 v8, v125, v8
	v_lshlrev_b32_e32 v37, 6, v131
	s_mov_b32 s15, 0xbfe2cf23
	s_mov_b32 s17, 0x3fe2cf23
	s_clause 0x1
	global_load_b128 v[12:15], v36, s[4:5] offset:32
	global_load_b128 v[44:47], v37, s[4:5] offset:32
	v_and_b32_e32 v129, 0xff, v8
	global_load_b128 v[64:67], v36, s[4:5]
	s_wait_alu 0xfffe
	s_mov_b32 s16, s14
	s_mov_b32 s2, 0x372fe950
	;; [unrolled: 1-line block ×3, first 2 shown]
	v_lshlrev_b32_e32 v48, 6, v129
	s_clause 0x8
	global_load_b128 v[56:59], v37, s[4:5]
	global_load_b128 v[52:55], v37, s[4:5] offset:16
	global_load_b128 v[8:11], v48, s[4:5]
	global_load_b128 v[68:71], v36, s[4:5] offset:16
	global_load_b128 v[40:43], v48, s[4:5] offset:16
	;; [unrolled: 1-line block ×6, first 2 shown]
	ds_load_2addr_b64 v[80:83], v126 offset0:14 offset1:44
	ds_load_2addr_b64 v[84:87], v124 offset0:90 offset1:120
	;; [unrolled: 1-line block ×6, first 2 shown]
	ds_load_b64 v[139:140], v123
	ds_load_2addr_b64 v[135:138], v124 offset0:30 offset1:60
	v_and_b32_e32 v132, 0xffff, v132
	global_wb scope:SCOPE_SE
	s_wait_loadcnt_dscnt 0x0
	s_barrier_signal -1
	s_barrier_wait -1
	global_inv scope:SCOPE_SE
	v_mul_f64_e32 v[106:107], v[82:83], v[14:15]
	v_mul_f64_e32 v[116:117], v[80:81], v[46:47]
	;; [unrolled: 1-line block ×23, first 2 shown]
	v_fma_f64 v[34:35], v[34:35], v[12:13], v[106:107]
	v_fma_f64 v[32:33], v[32:33], v[44:45], v[116:117]
	;; [unrolled: 1-line block ×3, first 2 shown]
	v_mov_b32_e32 v113, v103
	v_fma_f64 v[26:27], v[26:27], v[52:53], v[108:109]
	v_fma_f64 v[108:109], v[24:25], v[8:9], v[110:111]
	v_mul_f64_e32 v[24:25], v[24:25], v[10:11]
	v_fma_f64 v[20:21], v[20:21], v[68:69], v[141:142]
	v_fma_f64 v[22:23], v[22:23], v[40:41], v[143:144]
	v_fma_f64 v[52:53], v[78:79], v[52:53], -v[54:55]
	v_fma_f64 v[110:111], v[4:5], v[48:49], v[151:152]
	v_fma_f64 v[44:45], v[80:81], v[44:45], -v[46:47]
	v_fma_f64 v[30:31], v[30:31], v[64:65], v[114:115]
	v_fma_f64 v[6:7], v[6:7], v[60:61], v[145:146]
	v_fma_f64 v[56:57], v[84:85], v[56:57], -v[58:59]
	v_fma_f64 v[46:47], v[98:99], v[60:61], -v[62:63]
	;; [unrolled: 1-line block ×5, first 2 shown]
	v_fma_f64 v[16:17], v[16:17], v[72:73], v[147:148]
	v_fma_f64 v[13:14], v[92:93], v[72:73], -v[74:75]
	v_fma_f64 v[40:41], v[90:91], v[40:41], -v[42:43]
	;; [unrolled: 1-line block ×3, first 2 shown]
	v_fma_f64 v[18:19], v[18:19], v[36:37], v[149:150]
	v_subrev_nc_u32_e32 v116, 20, v119
	v_lshlrev_b64_e32 v[28:29], 4, v[102:103]
	v_add_nc_u32_e32 v102, 20, v102
	v_and_b32_e32 v60, 0xffff, v133
	v_and_b32_e32 v117, 0xff, v118
	v_cndmask_b32_e64 v10, v116, v122, s0
	v_and_b32_e32 v15, 0xffff, v134
	v_lshlrev_b64_e32 v[114:115], 4, v[102:103]
	v_mad_u32_u24 v166, 0x190, v60, 0
	v_mul_lo_u16 v116, v117, 41
	v_and_b32_e32 v117, 0xff, v128
	v_add_co_u32 v28, s0, s4, v28
	v_lshlrev_b32_e32 v112, 1, v10
	s_wait_alu 0xf1ff
	v_add_co_ci_u32_e64 v29, s0, s5, v29, s0
	v_add_f64_e32 v[84:85], v[104:105], v[106:107]
	v_add_co_u32 v58, s0, s4, v114
	v_lshrrev_b16 v4, 11, v116
	v_fma_f64 v[8:9], v[76:77], v[8:9], -v[24:25]
	v_fma_f64 v[24:25], v[94:95], v[36:37], -v[38:39]
	v_add_f64_e32 v[36:37], v[26:27], v[32:33]
	v_add_f64_e32 v[48:49], v[20:21], v[34:35]
	;; [unrolled: 1-line block ×6, first 2 shown]
	v_mul_lo_u16 v5, v117, 41
	v_add_f64_e32 v[80:81], v[56:57], v[46:47]
	s_wait_alu 0xf1ff
	v_add_co_ci_u32_e64 v59, s0, s5, v115, s0
	v_add_f64_e32 v[68:69], v[66:67], v[11:12]
	v_add_f64_e32 v[50:51], v[30:31], v[16:17]
	v_add_f64_e32 v[70:71], v[64:65], v[13:14]
	v_add_f64_e32 v[116:117], v[2:3], v[108:109]
	v_add_f64_e32 v[114:115], v[40:41], v[42:43]
	v_lshlrev_b64_e32 v[54:55], 4, v[112:113]
	v_add_f64_e32 v[62:63], v[108:109], v[18:19]
	v_add_f64_e64 v[112:113], v[56:57], -v[46:47]
	v_add_f64_e64 v[72:73], v[106:107], -v[26:27]
	;; [unrolled: 1-line block ×9, first 2 shown]
	v_add_f64_e32 v[56:57], v[139:140], v[56:57]
	v_add_f64_e64 v[151:152], v[64:65], -v[13:14]
	v_add_f64_e64 v[106:107], v[106:107], -v[6:7]
	;; [unrolled: 1-line block ×5, first 2 shown]
	v_add_f64_e32 v[84:85], v[84:85], v[26:27]
	v_add_f64_e64 v[26:27], v[26:27], -v[32:33]
	v_add_f64_e32 v[145:146], v[135:136], v[64:65]
	v_add_f64_e64 v[30:31], v[30:31], -v[16:17]
	v_add_f64_e64 v[161:162], v[22:23], -v[108:109]
	v_add_f64_e32 v[133:134], v[8:9], v[24:25]
	v_fma_f64 v[36:37], v[36:37], -0.5, v[104:105]
	v_fma_f64 v[48:49], v[48:49], -0.5, v[0:1]
	v_add_f64_e64 v[153:154], v[8:9], -v[24:25]
	v_fma_f64 v[60:61], v[60:61], -0.5, v[2:3]
	v_fma_f64 v[78:79], v[78:79], -0.5, v[139:140]
	v_fma_f64 v[38:39], v[38:39], -0.5, v[104:105]
	v_add_f64_e32 v[86:87], v[86:87], v[20:21]
	v_fma_f64 v[80:81], v[80:81], -0.5, v[139:140]
	v_add_f64_e32 v[139:140], v[137:138], v[8:9]
	v_add_f64_e64 v[104:105], v[66:67], -v[11:12]
	v_fma_f64 v[68:69], v[68:69], -0.5, v[135:136]
	v_fma_f64 v[0:1], v[50:51], -0.5, v[0:1]
	v_add_f64_e64 v[163:164], v[110:111], -v[18:19]
	v_add_f64_e64 v[20:21], v[20:21], -v[34:35]
	v_fma_f64 v[70:71], v[70:71], -0.5, v[135:136]
	v_add_f64_e64 v[157:158], v[108:109], -v[22:23]
	v_add_f64_e64 v[108:109], v[108:109], -v[18:19]
	v_fma_f64 v[114:115], v[114:115], -0.5, v[137:138]
	v_add_f64_e32 v[116:117], v[116:117], v[22:23]
	v_add_f64_e64 v[50:51], v[40:41], -v[42:43]
	v_fma_f64 v[2:3], v[62:63], -0.5, v[2:3]
	v_add_f64_e64 v[159:160], v[18:19], -v[110:111]
	v_add_f64_e64 v[22:23], v[22:23], -v[110:111]
	;; [unrolled: 1-line block ×3, first 2 shown]
	v_add_f64_e32 v[72:73], v[72:73], v[74:75]
	v_add_f64_e32 v[74:75], v[76:77], v[82:83]
	;; [unrolled: 1-line block ×4, first 2 shown]
	v_add_f64_e64 v[94:95], v[44:45], -v[46:47]
	v_add_f64_e64 v[147:148], v[64:65], -v[66:67]
	v_add_f64_e32 v[82:83], v[141:142], v[143:144]
	v_add_f64_e64 v[143:144], v[8:9], -v[40:41]
	v_add_f64_e32 v[32:33], v[84:85], v[32:33]
	v_add_f64_e64 v[8:9], v[40:41], -v[8:9]
	v_add_f64_e64 v[62:63], v[13:14], -v[11:12]
	;; [unrolled: 1-line block ×3, first 2 shown]
	v_add_f64_e32 v[66:67], v[145:146], v[66:67]
	v_fma_f64 v[133:134], v[133:134], -0.5, v[137:138]
	v_fma_f64 v[135:136], v[112:113], s[6:7], v[36:37]
	v_fma_f64 v[36:37], v[112:113], s[12:13], v[36:37]
	;; [unrolled: 1-line block ×9, first 2 shown]
	v_add_f64_e32 v[40:41], v[139:140], v[40:41]
	v_add_f64_e32 v[34:35], v[86:87], v[34:35]
	v_fma_f64 v[86:87], v[26:27], s[6:7], v[80:81]
	v_fma_f64 v[80:81], v[26:27], s[12:13], v[80:81]
	;; [unrolled: 1-line block ×4, first 2 shown]
	v_add_f64_e64 v[155:156], v[11:12], -v[13:14]
	v_fma_f64 v[98:99], v[104:105], s[12:13], v[0:1]
	v_fma_f64 v[0:1], v[104:105], s[6:7], v[0:1]
	v_add_f64_e32 v[161:162], v[161:162], v[163:164]
	v_fma_f64 v[163:164], v[20:21], s[6:7], v[70:71]
	v_fma_f64 v[70:71], v[20:21], s[12:13], v[70:71]
	;; [unrolled: 1-line block ×3, first 2 shown]
	v_add_f64_e64 v[145:146], v[24:25], -v[42:43]
	v_add_f64_e32 v[110:111], v[116:117], v[110:111]
	v_fma_f64 v[116:117], v[108:109], s[12:13], v[114:115]
	v_fma_f64 v[141:142], v[50:51], s[12:13], v[2:3]
	;; [unrolled: 1-line block ×3, first 2 shown]
	v_add_f64_e32 v[157:158], v[157:158], v[159:160]
	v_add_f64_e64 v[159:160], v[42:43], -v[24:25]
	v_fma_f64 v[114:115], v[108:109], s[6:7], v[114:115]
	v_lshrrev_b16 v5, 11, v5
	v_mul_lo_u16 v102, v4, 50
	v_mad_u32_u24 v165, 0x190, v15, 0
	v_add_f64_e32 v[44:45], v[52:53], v[44:45]
	v_add_f64_e32 v[62:63], v[147:148], v[62:63]
	v_mul_lo_u16 v5, v5, 50
	v_sub_nc_u16 v15, v118, v102
	v_add_f64_e32 v[11:12], v[66:67], v[11:12]
	v_fma_f64 v[135:136], v[149:150], s[14:15], v[135:136]
	s_wait_alu 0xfffe
	v_fma_f64 v[36:37], v[149:150], s[16:17], v[36:37]
	v_fma_f64 v[149:150], v[22:23], s[6:7], v[133:134]
	;; [unrolled: 1-line block ×7, first 2 shown]
	v_sub_nc_u16 v102, v128, v5
	v_add_f64_e32 v[60:61], v[88:89], v[90:91]
	v_add_f64_e32 v[5:6], v[32:33], v[6:7]
	v_fma_f64 v[32:33], v[26:27], s[16:17], v[84:85]
	v_fma_f64 v[56:57], v[112:113], s[14:15], v[56:57]
	v_fma_f64 v[38:39], v[112:113], s[16:17], v[38:39]
	v_add_f64_e32 v[88:89], v[92:93], v[94:95]
	v_add_f64_e32 v[40:41], v[40:41], v[42:43]
	v_fma_f64 v[42:43], v[106:107], s[16:17], v[86:87]
	v_fma_f64 v[52:53], v[106:107], s[14:15], v[80:81]
	;; [unrolled: 1-line block ×3, first 2 shown]
	v_and_b32_e32 v137, 0xff, v15
	v_add_f64_e32 v[15:16], v[34:35], v[16:17]
	v_fma_f64 v[34:35], v[20:21], s[16:17], v[139:140]
	v_fma_f64 v[98:99], v[151:152], s[14:15], v[98:99]
	v_fma_f64 v[0:1], v[151:152], s[16:17], v[0:1]
	v_add_f64_e32 v[64:65], v[64:65], v[155:156]
	v_fma_f64 v[66:67], v[30:31], s[16:17], v[163:164]
	v_fma_f64 v[30:31], v[30:31], s[14:15], v[70:71]
	v_fma_f64 v[20:21], v[20:21], s[14:15], v[68:69]
	;; [unrolled: 4-line block ×3, first 2 shown]
	v_add_f64_e32 v[8:9], v[8:9], v[159:160]
	v_fma_f64 v[22:23], v[22:23], s[14:15], v[114:115]
	v_add_f64_e32 v[44:45], v[44:45], v[46:47]
	v_add_f64_e32 v[17:18], v[110:111], v[18:19]
	v_lshlrev_b32_e32 v7, 3, v131
	v_add_f64_e32 v[46:47], v[11:12], v[13:14]
	v_fma_f64 v[80:81], v[72:73], s[2:3], v[135:136]
	v_fma_f64 v[36:37], v[72:73], s[2:3], v[36:37]
	;; [unrolled: 1-line block ×8, first 2 shown]
	v_lshlrev_b32_e32 v19, 3, v130
	v_add_co_u32 v54, s0, s4, v54
	v_fma_f64 v[84:85], v[60:61], s[2:3], v[32:33]
	v_fma_f64 v[56:57], v[74:75], s[2:3], v[56:57]
	;; [unrolled: 1-line block ×3, first 2 shown]
	v_mad_u32_u24 v92, 0x190, v132, 0
	v_add_f64_e32 v[40:41], v[40:41], v[24:25]
	v_fma_f64 v[42:43], v[88:89], s[2:3], v[42:43]
	v_fma_f64 v[52:53], v[88:89], s[2:3], v[52:53]
	;; [unrolled: 1-line block ×3, first 2 shown]
	v_and_b32_e32 v102, 0xff, v102
	v_add3_u32 v96, v165, v7, v127
	v_fma_f64 v[34:35], v[62:63], s[2:3], v[34:35]
	v_fma_f64 v[74:75], v[82:83], s[2:3], v[98:99]
	v_fma_f64 v[0:1], v[82:83], s[2:3], v[0:1]
	v_lshlrev_b32_e32 v7, 3, v129
	v_fma_f64 v[66:67], v[64:65], s[2:3], v[66:67]
	v_fma_f64 v[64:65], v[64:65], s[2:3], v[30:31]
	;; [unrolled: 1-line block ×3, first 2 shown]
	s_wait_alu 0xf1ff
	v_add_co_ci_u32_e64 v55, s0, s5, v55, s0
	v_fma_f64 v[68:69], v[90:91], s[2:3], v[68:69]
	v_fma_f64 v[82:83], v[161:162], s[2:3], v[112:113]
	;; [unrolled: 1-line block ×4, first 2 shown]
	v_add3_u32 v97, v166, v19, v127
	v_lshlrev_b32_e32 v93, 5, v137
	v_lshlrev_b32_e32 v98, 5, v102
	v_cmp_lt_u32_e64 s0, 19, v119
	v_lshlrev_b32_e32 v10, 3, v10
	v_fma_f64 v[70:71], v[8:9], s[2:3], v[70:71]
	v_fma_f64 v[78:79], v[8:9], s[2:3], v[78:79]
	v_add3_u32 v9, v92, v7, v127
	ds_store_2addr_b64 v96, v[5:6], v[80:81] offset1:10
	ds_store_2addr_b64 v96, v[56:57], v[38:39] offset0:20 offset1:30
	ds_store_b64 v96, v[36:37] offset:320
	ds_store_2addr_b64 v97, v[15:16], v[72:73] offset1:10
	ds_store_2addr_b64 v97, v[74:75], v[0:1] offset0:20 offset1:30
	ds_store_b64 v97, v[48:49] offset:320
	;; [unrolled: 3-line block ×3, first 2 shown]
	global_wb scope:SCOPE_SE
	s_wait_dscnt 0x0
	s_barrier_signal -1
	s_barrier_wait -1
	global_inv scope:SCOPE_SE
	ds_load_b64 v[94:95], v123
	ds_load_2addr_b64 v[0:3], v124 offset0:150 offset1:180
	ds_load_2addr_b64 v[5:8], v126 offset0:14 offset1:44
	;; [unrolled: 1-line block ×7, first 2 shown]
	global_wb scope:SCOPE_SE
	s_wait_dscnt 0x0
	s_barrier_signal -1
	s_barrier_wait -1
	global_inv scope:SCOPE_SE
	ds_store_2addr_b64 v96, v[44:45], v[84:85] offset1:10
	ds_store_2addr_b64 v96, v[42:43], v[52:53] offset0:20 offset1:30
	ds_store_b64 v96, v[60:61] offset:320
	ds_store_2addr_b64 v97, v[46:47], v[34:35] offset1:10
	ds_store_2addr_b64 v97, v[66:67], v[64:65] offset0:20 offset1:30
	ds_store_b64 v97, v[62:63] offset:320
	;; [unrolled: 3-line block ×3, first 2 shown]
	global_wb scope:SCOPE_SE
	s_wait_dscnt 0x0
	s_barrier_signal -1
	s_barrier_wait -1
	global_inv scope:SCOPE_SE
	s_clause 0x9
	global_load_b128 v[34:37], v[28:29], off offset:640
	global_load_b128 v[38:41], v[28:29], off offset:656
	;; [unrolled: 1-line block ×6, first 2 shown]
	global_load_b128 v[58:61], v93, s[4:5] offset:640
	global_load_b128 v[62:65], v93, s[4:5] offset:656
	;; [unrolled: 1-line block ×4, first 2 shown]
	ds_load_2addr_b64 v[74:77], v124 offset0:150 offset1:180
	ds_load_2addr_b64 v[78:81], v126 offset0:14 offset1:44
	;; [unrolled: 1-line block ×5, first 2 shown]
	s_wait_alu 0xf1ff
	v_cndmask_b32_e64 v9, 0, 0x4b0, s0
	s_mov_b32 s0, 0xe8584caa
	s_mov_b32 s1, 0xbfebb67a
	;; [unrolled: 1-line block ×3, first 2 shown]
	s_wait_alu 0xfffe
	s_mov_b32 s2, s0
	v_add_nc_u32_e32 v27, 0, v9
	s_wait_loadcnt_dscnt 0x904
	v_mul_f64_e32 v[96:97], v[74:75], v[36:37]
	s_wait_loadcnt_dscnt 0x803
	v_mul_f64_e32 v[98:99], v[80:81], v[40:41]
	s_wait_loadcnt 0x7
	v_mul_f64_e32 v[104:105], v[76:77], v[44:45]
	s_wait_loadcnt_dscnt 0x602
	v_mul_f64_e32 v[106:107], v[82:83], v[48:49]
	s_wait_loadcnt 0x5
	;; [unrolled: 4-line block ×4, first 2 shown]
	v_mul_f64_e32 v[116:117], v[78:79], v[68:69]
	s_wait_loadcnt 0x0
	v_mul_f64_e32 v[129:130], v[92:93], v[72:73]
	v_mul_f64_e32 v[36:37], v[0:1], v[36:37]
	v_mul_f64_e32 v[40:41], v[7:8], v[40:41]
	v_mul_f64_e32 v[44:45], v[2:3], v[44:45]
	v_mul_f64_e32 v[48:49], v[15:16], v[48:49]
	v_mul_f64_e32 v[56:57], v[19:20], v[56:57]
	v_mul_f64_e32 v[52:53], v[17:18], v[52:53]
	v_mul_f64_e32 v[60:61], v[21:22], v[60:61]
	v_mul_f64_e32 v[64:65], v[30:31], v[64:65]
	v_mul_f64_e32 v[68:69], v[5:6], v[68:69]
	v_mul_f64_e32 v[72:73], v[32:33], v[72:73]
	v_fma_f64 v[96:97], v[0:1], v[34:35], v[96:97]
	v_fma_f64 v[98:99], v[7:8], v[38:39], v[98:99]
	;; [unrolled: 1-line block ×10, first 2 shown]
	v_fma_f64 v[34:35], v[74:75], v[34:35], -v[36:37]
	v_fma_f64 v[36:37], v[80:81], v[38:39], -v[40:41]
	;; [unrolled: 1-line block ×10, first 2 shown]
	ds_load_b64 v[64:65], v123
	ds_load_2addr_b64 v[0:3], v124 offset0:30 offset1:60
	ds_load_2addr_b64 v[5:8], v124 offset0:90 offset1:120
	v_and_b32_e32 v92, 0xffff, v4
	v_lshlrev_b32_e32 v93, 3, v102
	global_wb scope:SCOPE_SE
	s_wait_dscnt 0x0
	s_barrier_signal -1
	s_barrier_wait -1
	global_inv scope:SCOPE_SE
	v_add_f64_e32 v[68:69], v[94:95], v[96:97]
	v_add_f64_e32 v[54:55], v[96:97], v[98:99]
	v_add_f64_e32 v[76:77], v[11:12], v[104:105]
	v_add_f64_e32 v[56:57], v[104:105], v[15:16]
	v_add_f64_e64 v[90:91], v[104:105], -v[15:16]
	v_add_f64_e32 v[58:59], v[19:20], v[17:18]
	v_add_f64_e32 v[84:85], v[23:24], v[21:22]
	;; [unrolled: 1-line block ×7, first 2 shown]
	v_add_f64_e64 v[72:73], v[34:35], -v[36:37]
	v_add_f64_e32 v[70:71], v[38:39], v[40:41]
	v_add_f64_e64 v[88:89], v[38:39], -v[40:41]
	v_add_f64_e32 v[74:75], v[42:43], v[44:45]
	v_add_f64_e32 v[34:35], v[64:65], v[34:35]
	;; [unrolled: 1-line block ×5, first 2 shown]
	v_add_f64_e64 v[19:20], v[19:20], -v[17:18]
	v_add_f64_e64 v[21:22], v[21:22], -v[30:31]
	v_add_f64_e32 v[68:69], v[68:69], v[98:99]
	v_fma_f64 v[54:55], v[54:55], -0.5, v[94:95]
	v_add_f64_e32 v[15:16], v[76:77], v[15:16]
	v_fma_f64 v[11:12], v[56:57], -0.5, v[11:12]
	v_add_f64_e64 v[56:57], v[42:43], -v[44:45]
	v_fma_f64 v[13:14], v[58:59], -0.5, v[13:14]
	v_add_f64_e64 v[58:59], v[46:47], -v[48:49]
	;; [unrolled: 2-line block ×4, first 2 shown]
	v_add_f64_e32 v[42:43], v[2:3], v[42:43]
	v_fma_f64 v[64:65], v[66:67], -0.5, v[64:65]
	v_add_f64_e32 v[46:47], v[5:6], v[46:47]
	v_fma_f64 v[0:1], v[70:71], -0.5, v[0:1]
	;; [unrolled: 2-line block ×3, first 2 shown]
	v_fma_f64 v[4:5], v[78:79], -0.5, v[5:6]
	v_add_f64_e64 v[66:67], v[106:107], -v[32:33]
	v_fma_f64 v[6:7], v[82:83], -0.5, v[7:8]
	v_add_f64_e32 v[8:9], v[84:85], v[30:31]
	v_add_f64_e32 v[30:31], v[86:87], v[32:33]
	;; [unrolled: 1-line block ×5, first 2 shown]
	v_add3_u32 v76, 0, v93, v127
	v_add3_u32 v77, v27, v10, v127
	s_delay_alu instid0(VALU_DEP_2)
	v_add_nc_u32_e32 v79, 0x800, v76
	v_fma_f64 v[32:33], v[72:73], s[0:1], v[54:55]
	s_wait_alu 0xfffe
	v_fma_f64 v[54:55], v[72:73], s[2:3], v[54:55]
	v_fma_f64 v[70:71], v[88:89], s[0:1], v[11:12]
	;; [unrolled: 1-line block ×9, first 2 shown]
	v_mad_u32_u24 v60, 0x4b0, v92, 0
	v_lshlrev_b32_e32 v61, 3, v137
	v_add_f64_e32 v[38:39], v[42:43], v[44:45]
	v_fma_f64 v[44:45], v[62:63], s[2:3], v[64:65]
	v_add_f64_e32 v[40:41], v[46:47], v[48:49]
	v_fma_f64 v[46:47], v[62:63], s[0:1], v[64:65]
	v_fma_f64 v[48:49], v[90:91], s[2:3], v[0:1]
	v_add_f64_e32 v[42:43], v[50:51], v[52:53]
	v_fma_f64 v[50:51], v[90:91], s[0:1], v[0:1]
	v_fma_f64 v[52:53], v[19:20], s[2:3], v[2:3]
	v_add3_u32 v78, v60, v61, v127
	v_fma_f64 v[60:61], v[19:20], s[0:1], v[2:3]
	v_fma_f64 v[62:63], v[21:22], s[2:3], v[4:5]
	;; [unrolled: 1-line block ×5, first 2 shown]
	ds_store_2addr_b64 v124, v[68:69], v[32:33] offset1:50
	ds_store_b64 v124, v[54:55] offset:800
	ds_store_2addr_b64 v77, v[15:16], v[70:71] offset1:50
	ds_store_b64 v77, v[11:12] offset:800
	ds_store_2addr_b64 v124, v[17:18], v[72:73] offset0:160 offset1:210
	ds_store_b64 v124, v[13:14] offset:2080
	ds_store_2addr_b64 v78, v[8:9], v[56:57] offset1:50
	ds_store_b64 v78, v[23:24] offset:800
	ds_store_2addr_b64 v79, v[30:31], v[58:59] offset0:44 offset1:94
	ds_store_b64 v76, v[25:26] offset:3200
	global_wb scope:SCOPE_SE
	s_wait_dscnt 0x0
	s_barrier_signal -1
	s_barrier_wait -1
	global_inv scope:SCOPE_SE
	ds_load_b64 v[72:73], v123
	ds_load_2addr_b64 v[16:19], v124 offset0:150 offset1:180
	ds_load_2addr_b64 v[24:27], v126 offset0:14 offset1:44
	;; [unrolled: 1-line block ×7, first 2 shown]
	global_wb scope:SCOPE_SE
	s_wait_dscnt 0x0
	s_barrier_signal -1
	s_barrier_wait -1
	global_inv scope:SCOPE_SE
	ds_store_2addr_b64 v124, v[34:35], v[44:45] offset1:50
	ds_store_b64 v124, v[46:47] offset:800
	ds_store_2addr_b64 v77, v[36:37], v[48:49] offset1:50
	ds_store_b64 v77, v[50:51] offset:800
	ds_store_2addr_b64 v124, v[38:39], v[52:53] offset0:160 offset1:210
	ds_store_b64 v124, v[60:61] offset:2080
	ds_store_2addr_b64 v78, v[40:41], v[62:63] offset1:50
	ds_store_b64 v78, v[64:65] offset:800
	ds_store_2addr_b64 v79, v[42:43], v[74:75] offset0:44 offset1:94
	ds_store_b64 v76, v[66:67] offset:3200
	global_wb scope:SCOPE_SE
	s_wait_dscnt 0x0
	s_barrier_signal -1
	s_barrier_wait -1
	global_inv scope:SCOPE_SE
	s_and_saveexec_b32 s6, vcc_lo
	s_cbranch_execz .LBB0_19
; %bb.18:
	v_add_nc_u32_e32 v143, 0x186, v119
	v_add_nc_u32_e32 v139, 0x12c, v119
	;; [unrolled: 1-line block ×3, first 2 shown]
	v_mad_co_u64_u32 v[104:105], null, s8, v122, 0
	s_delay_alu instid0(VALU_DEP_4) | instskip(SKIP_3) | instid1(VALU_DEP_3)
	v_mad_co_u64_u32 v[131:132], null, s8, v143, 0
	v_add_nc_u32_e32 v138, 0x96, v119
	v_mad_co_u64_u32 v[116:117], null, s8, v139, 0
	v_mad_co_u64_u32 v[126:127], null, s8, v141, 0
	;; [unrolled: 1-line block ×3, first 2 shown]
	v_lshlrev_b32_e32 v102, 1, v128
	v_mul_hi_u32 v133, 0x1b4e81b5, v128
	v_mad_co_u64_u32 v[106:107], null, s8, v121, 0
	v_mad_co_u64_u32 v[108:109], null, s8, v125, 0
	s_delay_alu instid0(VALU_DEP_4)
	v_lshlrev_b64_e32 v[30:31], 4, v[102:103]
	v_lshlrev_b32_e32 v102, 1, v118
	v_mad_co_u64_u32 v[110:111], null, s8, v120, 0
	v_lshrrev_b32_e32 v137, 4, v133
	v_mad_co_u64_u32 v[112:113], null, s8, v118, 0
	v_add_co_u32 v30, vcc_lo, s4, v30
	s_wait_alu 0xfffd
	v_add_co_ci_u32_e32 v31, vcc_lo, s5, v31, vcc_lo
	s_clause 0x1
	global_load_b128 v[68:71], v[28:29], off offset:2256
	global_load_b128 v[64:67], v[30:31], off offset:2240
	v_lshlrev_b64_e32 v[32:33], 4, v[102:103]
	v_lshlrev_b32_e32 v102, 1, v125
	s_clause 0x1
	global_load_b128 v[44:47], v[28:29], off offset:2240
	global_load_b128 v[48:51], v[30:31], off offset:2256
	v_mad_u32_u24 v151, 0x12c, v137, v128
	v_lshlrev_b64_e32 v[28:29], 4, v[102:103]
	v_lshlrev_b32_e32 v102, 1, v122
	v_add_co_u32 v36, vcc_lo, s4, v32
	s_wait_alu 0xfffd
	v_add_co_ci_u32_e32 v37, vcc_lo, s5, v33, vcc_lo
	s_delay_alu instid0(VALU_DEP_3)
	v_lshlrev_b64_e32 v[38:39], 4, v[102:103]
	v_add_co_u32 v52, vcc_lo, s4, v28
	s_wait_alu 0xfffd
	v_add_co_ci_u32_e32 v53, vcc_lo, s5, v29, vcc_lo
	s_clause 0x1
	global_load_b128 v[32:35], v[36:37], off offset:2240
	global_load_b128 v[28:31], v[36:37], off offset:2256
	v_add_co_u32 v54, vcc_lo, s4, v38
	s_wait_alu 0xfffd
	v_add_co_ci_u32_e32 v55, vcc_lo, s5, v39, vcc_lo
	s_clause 0x3
	global_load_b128 v[40:43], v[52:53], off offset:2240
	global_load_b128 v[36:39], v[52:53], off offset:2256
	;; [unrolled: 1-line block ×4, first 2 shown]
	v_mad_co_u64_u32 v[102:103], null, s8, v119, 0
	v_add_co_u32 v74, vcc_lo, s10, v100
	ds_load_2addr_b64 v[60:63], v124 offset0:150 offset1:180
	ds_load_2addr_b64 v[76:79], v124 offset0:210 offset1:240
	s_wait_alu 0xfffd
	v_add_co_ci_u32_e32 v75, vcc_lo, s11, v101, vcc_lo
	v_mad_co_u64_u32 v[133:134], null, s9, v119, v[103:104]
	v_mad_co_u64_u32 v[134:135], null, s9, v122, v[105:106]
	v_dual_mov_b32 v103, v115 :: v_dual_add_nc_u32 v142, 0xf0, v119
	v_mov_b32_e32 v105, v117
	v_mad_co_u64_u32 v[135:136], null, s9, v125, v[109:110]
	v_mad_co_u64_u32 v[117:118], null, s9, v118, v[113:114]
	v_mov_b32_e32 v109, v127
	v_mov_b32_e32 v113, v132
	v_mad_co_u64_u32 v[127:128], null, s9, v138, v[103:104]
	v_mad_co_u64_u32 v[138:139], null, s9, v139, v[105:106]
	v_mov_b32_e32 v105, v134
	v_mad_co_u64_u32 v[129:130], null, s8, v142, 0
	v_add_nc_u32_e32 v96, 0x800, v124
	v_dual_mov_b32 v103, v133 :: v_dual_add_nc_u32 v140, 0x14a, v119
	v_mad_co_u64_u32 v[119:120], null, s9, v120, v[111:112]
	v_mad_co_u64_u32 v[121:122], null, s9, v121, v[107:108]
	v_mov_b32_e32 v111, v130
	ds_load_2addr_b64 v[80:83], v124 offset0:90 offset1:120
	ds_load_2addr_b64 v[84:87], v124 offset0:30 offset1:60
	ds_load_b64 v[100:101], v123
	ds_load_2addr_b64 v[88:91], v96 offset0:14 offset1:44
	ds_load_2addr_b64 v[92:95], v96 offset0:74 offset1:104
	v_mad_co_u64_u32 v[123:124], null, s8, v140, 0
	ds_load_2addr_b64 v[96:99], v96 offset0:134 offset1:164
	v_add_nc_u32_e32 v128, 0x96, v151
	v_lshlrev_b64_e32 v[102:103], 4, v[102:103]
	v_lshlrev_b64_e32 v[104:105], 4, v[104:105]
	v_mov_b32_e32 v115, v127
	v_mov_b32_e32 v107, v124
	s_delay_alu instid0(VALU_DEP_1) | instskip(SKIP_1) | instid1(VALU_DEP_1)
	v_mad_co_u64_u32 v[139:140], null, s9, v140, v[107:108]
	v_mov_b32_e32 v107, v121
	v_lshlrev_b64_e32 v[106:107], 4, v[106:107]
	s_wait_loadcnt 0x9
	v_mul_f64_e32 v[136:137], v[26:27], v[70:71]
	s_wait_dscnt 0x2
	v_mul_f64_e32 v[70:71], v[90:91], v[70:71]
	s_wait_loadcnt 0x8
	v_mul_f64_e32 v[124:125], v[24:25], v[66:67]
	v_mul_f64_e32 v[66:67], v[88:89], v[66:67]
	s_wait_loadcnt 0x6
	v_mul_f64_e32 v[120:121], v[22:23], v[50:51]
	s_wait_dscnt 0x0
	v_mul_f64_e32 v[50:51], v[98:99], v[50:51]
	s_wait_loadcnt 0x5
	v_mul_f64_e32 v[133:134], v[14:15], v[34:35]
	s_wait_loadcnt 0x4
	v_mul_f64_e32 v[145:146], v[20:21], v[30:31]
	v_mul_f64_e32 v[34:35], v[78:79], v[34:35]
	;; [unrolled: 1-line block ×3, first 2 shown]
	s_wait_loadcnt 0x3
	v_mul_f64_e32 v[147:148], v[12:13], v[42:43]
	s_wait_loadcnt 0x2
	v_mul_f64_e32 v[149:150], v[10:11], v[38:39]
	v_mul_f64_e32 v[42:43], v[76:77], v[42:43]
	;; [unrolled: 1-line block ×3, first 2 shown]
	v_fma_f64 v[90:91], v[90:91], v[68:69], -v[136:137]
	v_fma_f64 v[26:27], v[26:27], v[68:69], v[70:71]
	v_fma_f64 v[70:71], v[88:89], v[64:65], -v[124:125]
	v_mov_b32_e32 v124, v139
	v_mad_co_u64_u32 v[140:141], null, s9, v141, v[109:110]
	v_mad_co_u64_u32 v[141:142], null, s9, v142, v[111:112]
	;; [unrolled: 1-line block ×4, first 2 shown]
	v_mov_b32_e32 v109, v135
	v_add_nc_u32_e32 v135, 0x12c, v151
	v_fma_f64 v[24:25], v[24:25], v[64:65], v[66:67]
	s_wait_loadcnt 0x1
	v_mul_f64_e32 v[68:69], v[18:19], v[58:59]
	v_mul_f64_e32 v[58:59], v[62:63], v[58:59]
	s_wait_loadcnt 0x0
	v_mul_f64_e32 v[88:89], v[8:9], v[54:55]
	v_mov_b32_e32 v122, v144
	v_mad_co_u64_u32 v[66:67], null, s8, v135, 0
	v_mov_b32_e32 v111, v119
	v_mul_f64_e32 v[118:119], v[16:17], v[46:47]
	v_mul_f64_e32 v[46:47], v[60:61], v[46:47]
	;; [unrolled: 1-line block ×3, first 2 shown]
	v_fma_f64 v[22:23], v[22:23], v[48:49], v[50:51]
	v_fma_f64 v[50:51], v[76:77], v[40:41], -v[147:148]
	v_fma_f64 v[76:77], v[94:95], v[36:37], -v[149:150]
	v_fma_f64 v[12:13], v[12:13], v[40:41], v[42:43]
	v_lshlrev_b64_e32 v[123:124], 4, v[123:124]
	v_lshlrev_b64_e32 v[108:109], 4, v[108:109]
	v_mad_co_u64_u32 v[64:65], null, s8, v128, 0
	v_lshlrev_b64_e32 v[114:115], 4, v[114:115]
	v_dual_mov_b32 v127, v140 :: v_dual_mov_b32 v132, v142
	v_mov_b32_e32 v130, v141
	s_delay_alu instid0(VALU_DEP_2)
	v_lshlrev_b64_e32 v[125:126], 4, v[126:127]
	v_fma_f64 v[62:63], v[62:63], v[56:57], -v[68:69]
	v_fma_f64 v[18:19], v[18:19], v[56:57], v[58:59]
	v_fma_f64 v[56:57], v[92:93], v[52:53], -v[88:89]
	v_add_co_u32 v88, vcc_lo, v74, v102
	s_wait_alu 0xfffd
	v_add_co_ci_u32_e32 v89, vcc_lo, v75, v103, vcc_lo
	v_fma_f64 v[60:61], v[60:61], v[44:45], -v[118:119]
	v_fma_f64 v[16:17], v[16:17], v[44:45], v[46:47]
	v_fma_f64 v[44:45], v[98:99], v[48:49], -v[120:121]
	v_fma_f64 v[46:47], v[78:79], v[32:33], -v[133:134]
	;; [unrolled: 1-line block ×3, first 2 shown]
	v_fma_f64 v[52:53], v[8:9], v[52:53], v[54:55]
	v_fma_f64 v[8:9], v[14:15], v[32:33], v[34:35]
	;; [unrolled: 1-line block ×3, first 2 shown]
	v_mov_b32_e32 v28, v67
	v_fma_f64 v[20:21], v[10:11], v[36:37], v[38:39]
	v_add_f64_e32 v[35:36], v[24:25], v[22:23]
	v_add_f64_e32 v[39:40], v[50:51], v[76:77]
	v_add_co_u32 v92, vcc_lo, v74, v104
	s_wait_alu 0xfffd
	v_add_co_ci_u32_e32 v93, vcc_lo, v75, v105, vcc_lo
	v_mad_co_u64_u32 v[10:11], null, s9, v151, v[122:123]
	v_mov_b32_e32 v113, v117
	v_lshlrev_b64_e32 v[110:111], 4, v[110:111]
	v_add_co_u32 v94, vcc_lo, v74, v106
	s_wait_alu 0xfffd
	v_add_co_ci_u32_e32 v95, vcc_lo, v75, v107, vcc_lo
	v_mov_b32_e32 v144, v10
	v_lshlrev_b64_e32 v[112:113], 4, v[112:113]
	v_add_co_u32 v96, vcc_lo, v74, v108
	s_wait_alu 0xfffd
	v_add_co_ci_u32_e32 v97, vcc_lo, v75, v109, vcc_lo
	v_mov_b32_e32 v11, v65
	v_add_co_u32 v98, vcc_lo, v74, v110
	v_add_f64_e32 v[41:42], v[62:63], v[56:57]
	s_wait_alu 0xfffd
	v_add_co_ci_u32_e32 v99, vcc_lo, v75, v111, vcc_lo
	v_add_co_u32 v102, vcc_lo, v74, v112
	v_add_f64_e32 v[29:30], v[60:61], v[90:91]
	v_add_f64_e32 v[31:32], v[16:17], v[26:27]
	;; [unrolled: 1-line block ×3, first 2 shown]
	s_wait_alu 0xfffd
	v_add_co_ci_u32_e32 v103, vcc_lo, v75, v113, vcc_lo
	v_add_f64_e32 v[37:38], v[46:47], v[48:49]
	v_add_f64_e32 v[54:55], v[18:19], v[52:53]
	;; [unrolled: 1-line block ×3, first 2 shown]
	v_mad_co_u64_u32 v[106:107], null, s9, v128, v[11:12]
	v_add_f64_e32 v[104:105], v[12:13], v[20:21]
	v_add_f64_e64 v[110:111], v[16:17], -v[26:27]
	v_add_f64_e32 v[112:113], v[100:101], v[60:61]
	v_add_f64_e32 v[16:17], v[72:73], v[16:17]
	v_add_f64_e64 v[60:61], v[60:61], -v[90:91]
	v_add_f64_e32 v[118:119], v[6:7], v[24:25]
	v_add_f64_e64 v[120:121], v[24:25], -v[22:23]
	v_add_f64_e32 v[24:25], v[80:81], v[46:47]
	v_add_f64_e32 v[133:134], v[2:3], v[12:13]
	v_mov_b32_e32 v117, v138
	v_add_f64_e32 v[137:138], v[0:1], v[18:19]
	v_fma_f64 v[139:140], v[35:36], -0.5, v[6:7]
	v_lshlrev_b64_e32 v[78:79], 4, v[131:132]
	v_add_f64_e32 v[127:128], v[4:5], v[8:9]
	v_add_f64_e32 v[131:132], v[86:87], v[50:51]
	v_lshlrev_b64_e32 v[68:69], 4, v[129:130]
	v_add_f64_e64 v[129:130], v[8:9], -v[14:15]
	v_lshlrev_b64_e32 v[116:117], 4, v[116:117]
	v_mov_b32_e32 v65, v106
	s_delay_alu instid0(VALU_DEP_1)
	v_lshlrev_b64_e32 v[64:65], 4, v[64:65]
	v_mad_co_u64_u32 v[107:108], null, s9, v135, v[28:29]
	v_fma_f64 v[28:29], v[29:30], -0.5, v[100:101]
	v_fma_f64 v[30:31], v[31:32], -0.5, v[72:73]
	v_add_co_u32 v108, vcc_lo, v74, v114
	v_add_f64_e32 v[135:136], v[84:85], v[62:63]
	s_wait_alu 0xfffd
	v_add_co_ci_u32_e32 v109, vcc_lo, v75, v115, vcc_lo
	v_add_f64_e32 v[114:115], v[82:83], v[70:71]
	v_fma_f64 v[32:33], v[33:34], -0.5, v[82:83]
	v_add_f64_e64 v[82:83], v[18:19], -v[52:53]
	v_fma_f64 v[36:37], v[37:38], -0.5, v[80:81]
	v_fma_f64 v[80:81], v[39:40], -0.5, v[86:87]
	;; [unrolled: 1-line block ×3, first 2 shown]
	v_add_f64_e64 v[62:63], v[62:63], -v[56:57]
	v_fma_f64 v[54:55], v[54:55], -0.5, v[0:1]
	v_add_f64_e64 v[72:73], v[12:13], -v[20:21]
	v_add_f64_e64 v[84:85], v[50:51], -v[76:77]
	v_fma_f64 v[86:87], v[58:59], -0.5, v[4:5]
	v_fma_f64 v[58:59], v[104:105], -0.5, v[2:3]
	v_add_f64_e64 v[100:101], v[46:47], -v[48:49]
	v_add_f64_e64 v[70:71], v[70:71], -v[44:45]
	v_add_f64_e32 v[2:3], v[112:113], v[90:91]
	v_add_f64_e32 v[0:1], v[16:17], v[26:27]
	v_add_f64_e32 v[10:11], v[24:25], v[48:49]
	v_add_f64_e32 v[4:5], v[118:119], v[22:23]
	v_add_f64_e32 v[12:13], v[133:134], v[20:21]
	v_add_f64_e32 v[16:17], v[137:138], v[52:53]
	v_add_f64_e32 v[8:9], v[127:128], v[14:15]
	v_add_f64_e32 v[14:15], v[131:132], v[76:77]
	v_add_co_u32 v104, vcc_lo, v74, v116
	s_wait_alu 0xfffd
	v_add_co_ci_u32_e32 v105, vcc_lo, v75, v117, vcc_lo
	v_add_co_u32 v116, vcc_lo, v74, v123
	s_wait_alu 0xfffd
	v_add_co_ci_u32_e32 v117, vcc_lo, v75, v124, vcc_lo
	v_add_co_u32 v122, vcc_lo, v74, v125
	v_fma_f64 v[26:27], v[110:111], s[2:3], v[28:29]
	v_fma_f64 v[24:25], v[60:61], s[0:1], v[30:31]
	;; [unrolled: 1-line block ×4, first 2 shown]
	v_add_f64_e32 v[18:19], v[135:136], v[56:57]
	s_wait_alu 0xfffd
	v_add_co_ci_u32_e32 v123, vcc_lo, v75, v126, vcc_lo
	v_add_f64_e32 v[6:7], v[114:115], v[44:45]
	v_fma_f64 v[30:31], v[120:121], s[0:1], v[32:33]
	v_fma_f64 v[38:39], v[129:130], s[0:1], v[36:37]
	;; [unrolled: 1-line block ×16, first 2 shown]
	v_add_co_u32 v60, vcc_lo, v74, v68
	v_lshlrev_b64_e32 v[62:63], 4, v[143:144]
	v_mov_b32_e32 v67, v107
	s_wait_alu 0xfffd
	v_add_co_ci_u32_e32 v61, vcc_lo, v75, v69, vcc_lo
	v_add_co_u32 v68, vcc_lo, v74, v78
	s_wait_alu 0xfffd
	v_add_co_ci_u32_e32 v69, vcc_lo, v75, v79, vcc_lo
	v_lshlrev_b64_e32 v[66:67], 4, v[66:67]
	v_add_co_u32 v62, vcc_lo, v74, v62
	s_wait_alu 0xfffd
	v_add_co_ci_u32_e32 v63, vcc_lo, v75, v63, vcc_lo
	v_add_co_u32 v64, vcc_lo, v74, v64
	s_wait_alu 0xfffd
	v_add_co_ci_u32_e32 v65, vcc_lo, v75, v65, vcc_lo
	;; [unrolled: 3-line block ×3, first 2 shown]
	s_clause 0xe
	global_store_b128 v[88:89], v[0:3], off
	global_store_b128 v[108:109], v[24:27], off
	;; [unrolled: 1-line block ×15, first 2 shown]
.LBB0_19:
	s_nop 0
	s_sendmsg sendmsg(MSG_DEALLOC_VGPRS)
	s_endpgm
	.section	.rodata,"a",@progbits
	.p2align	6, 0x0
	.amdhsa_kernel fft_rtc_back_len450_factors_10_5_3_3_wgs_120_tpt_30_halfLds_dp_ip_CI_sbrr_dirReg
		.amdhsa_group_segment_fixed_size 0
		.amdhsa_private_segment_fixed_size 0
		.amdhsa_kernarg_size 88
		.amdhsa_user_sgpr_count 2
		.amdhsa_user_sgpr_dispatch_ptr 0
		.amdhsa_user_sgpr_queue_ptr 0
		.amdhsa_user_sgpr_kernarg_segment_ptr 1
		.amdhsa_user_sgpr_dispatch_id 0
		.amdhsa_user_sgpr_private_segment_size 0
		.amdhsa_wavefront_size32 1
		.amdhsa_uses_dynamic_stack 0
		.amdhsa_enable_private_segment 0
		.amdhsa_system_sgpr_workgroup_id_x 1
		.amdhsa_system_sgpr_workgroup_id_y 0
		.amdhsa_system_sgpr_workgroup_id_z 0
		.amdhsa_system_sgpr_workgroup_info 0
		.amdhsa_system_vgpr_workitem_id 0
		.amdhsa_next_free_vgpr 167
		.amdhsa_next_free_sgpr 35
		.amdhsa_reserve_vcc 1
		.amdhsa_float_round_mode_32 0
		.amdhsa_float_round_mode_16_64 0
		.amdhsa_float_denorm_mode_32 3
		.amdhsa_float_denorm_mode_16_64 3
		.amdhsa_fp16_overflow 0
		.amdhsa_workgroup_processor_mode 1
		.amdhsa_memory_ordered 1
		.amdhsa_forward_progress 0
		.amdhsa_round_robin_scheduling 0
		.amdhsa_exception_fp_ieee_invalid_op 0
		.amdhsa_exception_fp_denorm_src 0
		.amdhsa_exception_fp_ieee_div_zero 0
		.amdhsa_exception_fp_ieee_overflow 0
		.amdhsa_exception_fp_ieee_underflow 0
		.amdhsa_exception_fp_ieee_inexact 0
		.amdhsa_exception_int_div_zero 0
	.end_amdhsa_kernel
	.text
.Lfunc_end0:
	.size	fft_rtc_back_len450_factors_10_5_3_3_wgs_120_tpt_30_halfLds_dp_ip_CI_sbrr_dirReg, .Lfunc_end0-fft_rtc_back_len450_factors_10_5_3_3_wgs_120_tpt_30_halfLds_dp_ip_CI_sbrr_dirReg
                                        ; -- End function
	.section	.AMDGPU.csdata,"",@progbits
; Kernel info:
; codeLenInByte = 11392
; NumSgprs: 37
; NumVgprs: 167
; ScratchSize: 0
; MemoryBound: 1
; FloatMode: 240
; IeeeMode: 1
; LDSByteSize: 0 bytes/workgroup (compile time only)
; SGPRBlocks: 4
; VGPRBlocks: 20
; NumSGPRsForWavesPerEU: 37
; NumVGPRsForWavesPerEU: 167
; Occupancy: 9
; WaveLimiterHint : 1
; COMPUTE_PGM_RSRC2:SCRATCH_EN: 0
; COMPUTE_PGM_RSRC2:USER_SGPR: 2
; COMPUTE_PGM_RSRC2:TRAP_HANDLER: 0
; COMPUTE_PGM_RSRC2:TGID_X_EN: 1
; COMPUTE_PGM_RSRC2:TGID_Y_EN: 0
; COMPUTE_PGM_RSRC2:TGID_Z_EN: 0
; COMPUTE_PGM_RSRC2:TIDIG_COMP_CNT: 0
	.text
	.p2alignl 7, 3214868480
	.fill 96, 4, 3214868480
	.type	__hip_cuid_d150fddaefab1bcf,@object ; @__hip_cuid_d150fddaefab1bcf
	.section	.bss,"aw",@nobits
	.globl	__hip_cuid_d150fddaefab1bcf
__hip_cuid_d150fddaefab1bcf:
	.byte	0                               ; 0x0
	.size	__hip_cuid_d150fddaefab1bcf, 1

	.ident	"AMD clang version 19.0.0git (https://github.com/RadeonOpenCompute/llvm-project roc-6.4.0 25133 c7fe45cf4b819c5991fe208aaa96edf142730f1d)"
	.section	".note.GNU-stack","",@progbits
	.addrsig
	.addrsig_sym __hip_cuid_d150fddaefab1bcf
	.amdgpu_metadata
---
amdhsa.kernels:
  - .args:
      - .actual_access:  read_only
        .address_space:  global
        .offset:         0
        .size:           8
        .value_kind:     global_buffer
      - .offset:         8
        .size:           8
        .value_kind:     by_value
      - .actual_access:  read_only
        .address_space:  global
        .offset:         16
        .size:           8
        .value_kind:     global_buffer
      - .actual_access:  read_only
        .address_space:  global
        .offset:         24
        .size:           8
        .value_kind:     global_buffer
      - .offset:         32
        .size:           8
        .value_kind:     by_value
      - .actual_access:  read_only
        .address_space:  global
        .offset:         40
        .size:           8
        .value_kind:     global_buffer
      - .actual_access:  read_only
        .address_space:  global
        .offset:         48
        .size:           8
        .value_kind:     global_buffer
      - .offset:         56
        .size:           4
        .value_kind:     by_value
      - .actual_access:  read_only
        .address_space:  global
        .offset:         64
        .size:           8
        .value_kind:     global_buffer
      - .actual_access:  read_only
        .address_space:  global
        .offset:         72
        .size:           8
        .value_kind:     global_buffer
      - .address_space:  global
        .offset:         80
        .size:           8
        .value_kind:     global_buffer
    .group_segment_fixed_size: 0
    .kernarg_segment_align: 8
    .kernarg_segment_size: 88
    .language:       OpenCL C
    .language_version:
      - 2
      - 0
    .max_flat_workgroup_size: 120
    .name:           fft_rtc_back_len450_factors_10_5_3_3_wgs_120_tpt_30_halfLds_dp_ip_CI_sbrr_dirReg
    .private_segment_fixed_size: 0
    .sgpr_count:     37
    .sgpr_spill_count: 0
    .symbol:         fft_rtc_back_len450_factors_10_5_3_3_wgs_120_tpt_30_halfLds_dp_ip_CI_sbrr_dirReg.kd
    .uniform_work_group_size: 1
    .uses_dynamic_stack: false
    .vgpr_count:     167
    .vgpr_spill_count: 0
    .wavefront_size: 32
    .workgroup_processor_mode: 1
amdhsa.target:   amdgcn-amd-amdhsa--gfx1201
amdhsa.version:
  - 1
  - 2
...

	.end_amdgpu_metadata
